;; amdgpu-corpus repo=ROCm/aiter kind=harvested arch=n/a opt=n/a

/root/src/amdgpu-assembly/repos/ROCm__aiter/hsa/gfx942/fmoe_2stages/fmoe_stage1_bf16_pertokenFp8_doweight_g1u1_112x64_pf3.co:	file format elf64-amdgpu

Disassembly of section .text:

0000000000002a00 <_ZN5aiter53fmoe_stage1_bf16_pertokenFp8_doweight_g1u1_112x64_pf3E>:
	s_and_b32 s1, s1, 0xffff                                   // 000000002A00: 8601FF01 0000FFFF
	s_load_dwordx2 s[8:9], s[0:1], 0x0                         // 000000002A08: C0060200 00000000
	s_load_dwordx2 s[20:21], s[0:1], 0x10                      // 000000002A10: C0060500 00000010
	s_load_dwordx2 s[24:25], s[0:1], 0x20                      // 000000002A18: C0060600 00000020
	s_load_dwordx2 s[48:49], s[0:1], 0x30                      // 000000002A20: C0060C00 00000030
	s_load_dwordx2 s[28:29], s[0:1], 0x40                      // 000000002A28: C0060700 00000040
	s_load_dwordx2 s[32:33], s[0:1], 0x50                      // 000000002A30: C0060800 00000050
	s_load_dwordx2 s[36:37], s[0:1], 0x60                      // 000000002A38: C0060900 00000060
	s_load_dwordx2 s[12:13], s[0:1], 0x70                      // 000000002A40: C0060300 00000070
	s_load_dwordx2 s[44:45], s[0:1], 0x80                      // 000000002A48: C0060B00 00000080
	s_mov_b32 s89, 0                                           // 000000002A50: BED90080
	s_load_dword s64, s[0:1], 0x90                             // 000000002A54: C0021000 00000090
	s_load_dword s65, s[0:1], 0xa0                             // 000000002A5C: C0021040 000000A0
	s_load_dword s66, s[0:1], 0xb0                             // 000000002A64: C0021080 000000B0
	s_load_dword s67, s[0:1], 0xc0                             // 000000002A6C: C00210C0 000000C0
	s_load_dword s68, s[0:1], 0xd0                             // 000000002A74: C0021100 000000D0
	s_load_dword s69, s[0:1], 0xe0                             // 000000002A7C: C0021140 000000E0
	s_load_dword s71, s[0:1], 0xf0                             // 000000002A84: C00211C0 000000F0
	s_load_dword s72, s[0:1], 0x100                            // 000000002A8C: C0021200 00000100
	s_load_dword s74, s[0:1], 0x110                            // 000000002A94: C0021280 00000110
	s_load_dword s76, s[0:1], 0x120                            // 000000002A9C: C0021300 00000120
	s_load_dword s56, s[0:1], 0x130                            // 000000002AA4: C0020E00 00000130
	s_load_dword s88, s[0:1], 0x140                            // 000000002AAC: C0021600 00000140
	s_load_dword s89, s[0:1], 0x150                            // 000000002AB4: C0021640 00000150
	s_load_dwordx2 s[40:41], s[0:1], 0x160                     // 000000002ABC: C0060A00 00000160
	v_lshrrev_b32_e32 v1, 10, v0                               // 000000002AC4: 2002008A
	v_lshrrev_b32_e32 v2, 10, v1                               // 000000002AC8: 2004028A
	v_and_b32_e32 v2, 0x3ff, v2                                // 000000002ACC: 260404FF 000003FF
	v_and_b32_e32 v1, 0x3ff, v1                                // 000000002AD4: 260202FF 000003FF
	v_and_b32_e32 v0, 0x3ff, v0                                // 000000002ADC: 260000FF 000003FF
	v_lshrrev_b32_e32 v3, 6, v0                                // 000000002AE4: 20060086
	v_and_b32_e32 v0, 63, v0                                   // 000000002AE8: 260000BF
	s_mov_b32 s2, s2                                           // 000000002AEC: BE820002
	s_mov_b32 s3, s3                                           // 000000002AF0: BE830003
	s_mov_b32 s4, s4                                           // 000000002AF4: BE840004
	v_readfirstlane_b32 s7, v3                                 // 000000002AF8: 7E0E0503
	s_waitcnt lgkmcnt(0)                                       // 000000002AFC: BF8CC07F
	s_and_b32 s49, s49, 0xffff                                 // 000000002B00: 8631FF31 0000FFFF
	s_load_dword s48, s[48:49], 0x0                            // 000000002B08: C0020C18 00000000
	s_and_b32 s45, s45, 0xffff                                 // 000000002B10: 862DFF2D 0000FFFF
	s_and_b32 s9, s9, 0xffff                                   // 000000002B18: 8609FF09 0000FFFF
	s_mul_i32 s60, s66, s68                                    // 000000002B20: 923C4442
	s_mul_i32 s61, s66, 4                                      // 000000002B24: 923D8442
	s_mov_b32 s22, s60                                         // 000000002B28: BE96003C
	s_mov_b32 s26, -16                                         // 000000002B2C: BE9A00D0
	s_mov_b32 s30, s61                                         // 000000002B30: BE9E003D
	s_mov_b32 s14, 0x1c0                                       // 000000002B34: BE8E00FF 000001C0
	s_mov_b32 s38, -16                                         // 000000002B3C: BEA600D0
	s_mov_b32 s10, -16                                         // 000000002B40: BE8A00D0
	s_mov_b32 s34, 0x100                                       // 000000002B44: BEA200FF 00000100
	s_mov_b32 s23, 0x20000                                     // 000000002B4C: BE9700FF 00020000
	s_mov_b32 s27, 0x20000                                     // 000000002B54: BE9B00FF 00020000
	s_mov_b32 s31, 0x20000                                     // 000000002B5C: BE9F00FF 00020000
	s_mov_b32 s35, 0x20000                                     // 000000002B64: BEA300FF 00020000
	s_mov_b32 s15, 0x20000                                     // 000000002B6C: BE8F00FF 00020000
	s_mov_b32 s39, 0x20000                                     // 000000002B74: BEA700FF 00020000
	s_mov_b32 s11, 0x20000                                     // 000000002B7C: BE8B00FF 00020000
	s_and_b32 s21, s21, 0xffff                                 // 000000002B84: 8615FF15 0000FFFF
	s_and_b32 s25, s25, 0xffff                                 // 000000002B8C: 8619FF19 0000FFFF
	s_and_b32 s29, s29, 0xffff                                 // 000000002B94: 861DFF1D 0000FFFF
	s_and_b32 s33, s33, 0xffff                                 // 000000002B9C: 8621FF21 0000FFFF
	s_and_b32 s13, s13, 0xffff                                 // 000000002BA4: 860DFF0D 0000FFFF
	s_and_b32 s37, s37, 0xffff                                 // 000000002BAC: 8625FF25 0000FFFF
	s_or_b32 s21, s21, 0x40000                                 // 000000002BB4: 8715FF15 00040000
	s_or_b32 s25, s25, 0x40000                                 // 000000002BBC: 8719FF19 00040000
	s_or_b32 s29, s29, 0x40000                                 // 000000002BC4: 871DFF1D 00040000
	s_or_b32 s33, s33, 0x40000                                 // 000000002BCC: 8721FF21 00040000
	s_or_b32 s13, s13, 0x40000                                 // 000000002BD4: 870DFF0D 00040000
	s_or_b32 s37, s37, 0x40000                                 // 000000002BDC: 8725FF25 00040000
	s_mov_b32 s42, -16                                         // 000000002BE4: BEAA00D0
	s_mov_b32 s43, 0x20000                                     // 000000002BE8: BEAB00FF 00020000
	s_and_b32 s41, s41, 0xffff                                 // 000000002BF0: 8629FF29 0000FFFF
	s_or_b32 s41, s41, 0x40000                                 // 000000002BF8: 8729FF29 00040000
	v_accvgpr_write_b32 a135, 0                                // 000000002C00: D3D94087 18000080
	v_mov_b32_e32 v138, 0                                      // 000000002C08: 7F140280
	s_waitcnt lgkmcnt(0)                                       // 000000002C0C: BF8CC07F
	s_mul_i32 s60, s3, 0x70                                    // 000000002C10: 923CFF03 00000070
	s_cmp_lt_i32 s60, s48                                      // 000000002C18: BF04303C
	s_cbranch_scc0 label_25AB                                  // 000000002C1C: BF842520
	s_mov_b32 s80, 0                                           // 000000002C20: BED00080
	s_lshr_b32 s81, s64, s88                                   // 000000002C24: 8F515840
	s_mul_i32 s60, s3, 4                                       // 000000002C28: 923C8403
	s_add_u32 s44, s60, s44                                    // 000000002C2C: 802C2C3C
	s_addc_u32 s45, 0, s45                                     // 000000002C30: 822D2D80
	s_load_dword s5, s[44:45], 0x0                             // 000000002C34: C0020156 00000000
	s_mul_i32 s60, s3, 0x70                                    // 000000002C3C: 923CFF03 00000070
	s_mul_i32 s60, 4, s60                                      // 000000002C44: 923C3C84
	s_add_u32 s12, s60, s12                                    // 000000002C48: 800C0C3C
	s_addc_u32 s13, 0, s13                                     // 000000002C4C: 820D0D80
	v_and_b32_e32 v4, 15, v0                                   // 000000002C50: 2608008F
	v_lshlrev_b32_e32 v4, 2, v4                                // 000000002C54: 24080882
	buffer_load_dword v30, v4, s[12:15], 0 offen               // 000000002C58: E0501000 80031E04
	v_add_u32_e32 v4, 64, v4                                   // 000000002C60: 680808C0
	buffer_load_dword v31, v4, s[12:15], 0 offen               // 000000002C64: E0501000 80031F04
	v_add_u32_e32 v4, 64, v4                                   // 000000002C6C: 680808C0
	buffer_load_dword v32, v4, s[12:15], 0 offen               // 000000002C70: E0501000 80032004
	v_add_u32_e32 v4, 64, v4                                   // 000000002C78: 680808C0
	buffer_load_dword v33, v4, s[12:15], 0 offen               // 000000002C7C: E0501000 80032104
	v_add_u32_e32 v4, 64, v4                                   // 000000002C84: 680808C0
	buffer_load_dword v34, v4, s[12:15], 0 offen               // 000000002C88: E0501000 80032204
	v_add_u32_e32 v4, 64, v4                                   // 000000002C90: 680808C0
	buffer_load_dword v35, v4, s[12:15], 0 offen               // 000000002C94: E0501000 80032304
	v_add_u32_e32 v4, 64, v4                                   // 000000002C9C: 680808C0
	buffer_load_dword v36, v4, s[12:15], 0 offen               // 000000002CA0: E0501000 80032404
	v_add_u32_e32 v4, 64, v4                                   // 000000002CA8: 680808C0
	s_mul_i32 s60, 4, s7                                       // 000000002CAC: 923C0784
	v_lshlrev_b32_e32 v4, 4, v0                                // 000000002CB0: 24080084
	v_add_u32_e32 v4, s60, v4                                  // 000000002CB4: 6808083C
	buffer_load_dword v3, v4, s[12:15], 0 offen                // 000000002CB8: E0501000 80030304
	v_mov_b32_e32 v76, 0                                       // 000000002CC0: 7E980280
	v_mov_b32_e32 v104, 0                                      // 000000002CC4: 7ED00280
	v_mov_b32_e32 v77, 0                                       // 000000002CC8: 7E9A0280
	v_mov_b32_e32 v105, 0                                      // 000000002CCC: 7ED20280
	v_mov_b32_e32 v78, 0                                       // 000000002CD0: 7E9C0280
	v_mov_b32_e32 v106, 0                                      // 000000002CD4: 7ED40280
	v_mov_b32_e32 v79, 0                                       // 000000002CD8: 7E9E0280
	v_mov_b32_e32 v107, 0                                      // 000000002CDC: 7ED60280
	v_mov_b32_e32 v80, 0                                       // 000000002CE0: 7EA00280
	v_mov_b32_e32 v108, 0                                      // 000000002CE4: 7ED80280
	v_mov_b32_e32 v81, 0                                       // 000000002CE8: 7EA20280
	v_mov_b32_e32 v109, 0                                      // 000000002CEC: 7EDA0280
	v_mov_b32_e32 v82, 0                                       // 000000002CF0: 7EA40280
	v_mov_b32_e32 v110, 0                                      // 000000002CF4: 7EDC0280
	v_mov_b32_e32 v83, 0                                       // 000000002CF8: 7EA60280
	v_mov_b32_e32 v111, 0                                      // 000000002CFC: 7EDE0280
	v_mov_b32_e32 v84, 0                                       // 000000002D00: 7EA80280
	v_mov_b32_e32 v112, 0                                      // 000000002D04: 7EE00280
	v_mov_b32_e32 v85, 0                                       // 000000002D08: 7EAA0280
	v_mov_b32_e32 v113, 0                                      // 000000002D0C: 7EE20280
	v_mov_b32_e32 v86, 0                                       // 000000002D10: 7EAC0280
	v_mov_b32_e32 v114, 0                                      // 000000002D14: 7EE40280
	v_mov_b32_e32 v87, 0                                       // 000000002D18: 7EAE0280
	v_mov_b32_e32 v115, 0                                      // 000000002D1C: 7EE60280
	v_mov_b32_e32 v88, 0                                       // 000000002D20: 7EB00280
	v_mov_b32_e32 v116, 0                                      // 000000002D24: 7EE80280
	v_mov_b32_e32 v89, 0                                       // 000000002D28: 7EB20280
	v_mov_b32_e32 v117, 0                                      // 000000002D2C: 7EEA0280
	v_mov_b32_e32 v90, 0                                       // 000000002D30: 7EB40280
	v_mov_b32_e32 v118, 0                                      // 000000002D34: 7EEC0280
	v_mov_b32_e32 v91, 0                                       // 000000002D38: 7EB60280
	v_mov_b32_e32 v119, 0                                      // 000000002D3C: 7EEE0280
	v_mov_b32_e32 v92, 0                                       // 000000002D40: 7EB80280
	v_mov_b32_e32 v120, 0                                      // 000000002D44: 7EF00280
	v_mov_b32_e32 v93, 0                                       // 000000002D48: 7EBA0280
	v_mov_b32_e32 v121, 0                                      // 000000002D4C: 7EF20280
	v_mov_b32_e32 v94, 0                                       // 000000002D50: 7EBC0280
	v_mov_b32_e32 v122, 0                                      // 000000002D54: 7EF40280
	v_mov_b32_e32 v95, 0                                       // 000000002D58: 7EBE0280
	v_mov_b32_e32 v123, 0                                      // 000000002D5C: 7EF60280
	v_mov_b32_e32 v96, 0                                       // 000000002D60: 7EC00280
	v_mov_b32_e32 v124, 0                                      // 000000002D64: 7EF80280
	v_mov_b32_e32 v97, 0                                       // 000000002D68: 7EC20280
	v_mov_b32_e32 v125, 0                                      // 000000002D6C: 7EFA0280
	v_mov_b32_e32 v98, 0                                       // 000000002D70: 7EC40280
	v_mov_b32_e32 v126, 0                                      // 000000002D74: 7EFC0280
	v_mov_b32_e32 v99, 0                                       // 000000002D78: 7EC60280
	v_mov_b32_e32 v127, 0                                      // 000000002D7C: 7EFE0280
	v_mov_b32_e32 v100, 0                                      // 000000002D80: 7EC80280
	v_mov_b32_e32 v128, 0                                      // 000000002D84: 7F000280
	v_mov_b32_e32 v101, 0                                      // 000000002D88: 7ECA0280
	v_mov_b32_e32 v129, 0                                      // 000000002D8C: 7F020280
	v_mov_b32_e32 v102, 0                                      // 000000002D90: 7ECC0280
	v_mov_b32_e32 v130, 0                                      // 000000002D94: 7F040280
	v_mov_b32_e32 v103, 0                                      // 000000002D98: 7ECE0280
	v_mov_b32_e32 v131, 0                                      // 000000002D9C: 7F060280
	s_mul_i32 s60, s2, 0x80                                    // 000000002DA0: 923CFF02 00000080
	s_cmp_eq_u32 s88, 0                                        // 000000002DA8: BF068058
	s_cselect_b32 s61, 1, 2                                    // 000000002DAC: 853D8281
	s_mul_i32 s60, s60, s61                                    // 000000002DB0: 923C3D3C
	s_mov_b32 s90, s8                                          // 000000002DB4: BEDA0008
	s_mov_b32 s91, s9                                          // 000000002DB8: BEDB0009
	s_add_u32 s8, s60, s8                                      // 000000002DBC: 8008083C
	s_addc_u32 s9, 0, s9                                       // 000000002DC0: 82090980
	v_lshrrev_b32_e32 v4, 4, v0                                // 000000002DC4: 20080084
	v_mul_lo_u32 v20, 34, v4                                   // 000000002DC8: D2850014 000208A2
	v_and_b32_e32 v4, 15, v0                                   // 000000002DD0: 2608008F
	v_mul_lo_u32 v5, 2, v4                                     // 000000002DD4: D2850005 00020882
	v_add_u32_e32 v20, v5, v20                                 // 000000002DDC: 68282905
	s_mul_i32 s60, s7, 0x88                                    // 000000002DE0: 923CFF07 00000088
	v_add_u32_e32 v20, s60, v20                                // 000000002DE8: 6828283C
	v_lshlrev_b32_e32 v20, 2, v20                              // 000000002DEC: 24282882
	v_and_b32_e32 v4, 31, v0                                   // 000000002DF0: 2608009F
	v_lshrrev_b32_e32 v4, 1, v4                                // 000000002DF4: 20080881
	v_mul_lo_u32 v21, 34, v4                                   // 000000002DF8: D2850015 000208A2
	v_lshrrev_b32_e32 v4, 5, v0                                // 000000002E00: 20080085
	v_mul_lo_u32 v4, 8, v4                                     // 000000002E04: D2850004 00020888
	v_add_u32_e32 v21, v21, v4                                 // 000000002E0C: 682A0915
	v_and_b32_e32 v5, 1, v0                                    // 000000002E10: 260A0081
	v_add_u32_e32 v21, v5, v21                                 // 000000002E14: 682A2B05
	s_mul_i32 s60, s7, 2                                       // 000000002E18: 923C8207
	v_add_u32_e32 v21, s60, v21                                // 000000002E1C: 682A2A3C
	v_lshlrev_b32_e32 v21, 2, v21                              // 000000002E20: 242A2A82
	s_mul_i32 s60, s7, 0xe20                                   // 000000002E24: 923CFF07 00000E20
	s_add_u32 s48, 0, s60                                      // 000000002E2C: 80303C80
	s_add_u32 s49, 0x3880, s48                                 // 000000002E30: 803130FF 00003880
	s_add_u32 s50, 0x3880, s49                                 // 000000002E38: 803231FF 00003880
	v_lshrrev_b32_e32 v4, 4, v0                                // 000000002E40: 20080084
	v_lshlrev_b32_e32 v5, 2, v4                                // 000000002E44: 240A0882
	v_and_b32_e32 v4, 15, v0                                   // 000000002E48: 2608008F
	v_lshrrev_b32_e32 v6, 2, v4                                // 000000002E4C: 200C0882
	v_lshlrev_b32_e32 v6, 5, v6                                // 000000002E50: 240C0C85
	v_add_u32_e32 v5, v6, v5                                   // 000000002E54: 680A0B06
	v_and_b32_e32 v4, 3, v0                                    // 000000002E58: 26080083
	v_mul_u32_u24_e32 v6, 0x388, v4                            // 000000002E5C: 100C08FF 00000388
	v_add_u32_e32 v5, v6, v5                                   // 000000002E64: 680A0B06
	v_lshlrev_b32_e32 v2, 2, v5                                // 000000002E68: 24040A82
	s_waitcnt lgkmcnt(0)                                       // 000000002E6C: BF8CC07F
	s_mul_i32 s60, s2, 64                                      // 000000002E70: 923CC002
	s_mul_i32 s60, s60, s69                                    // 000000002E74: 923C453C
	s_mul_i32 s61, s5, s72                                     // 000000002E78: 923D4805
	s_add_u32 s60, s61, s60                                    // 000000002E7C: 803C3C3D
	s_add_u32 s24, s60, s24                                    // 000000002E80: 8018183C
	s_addc_u32 s25, 0, s25                                     // 000000002E84: 82191980
	s_lshr_b32 s60, s64, s88                                   // 000000002E88: 8F3C5840
	s_mul_i32 s60, s4, s60                                     // 000000002E8C: 923C3C04
	s_lshr_b32 s60, s60, 7                                     // 000000002E90: 8F3C873C
	s_mul_i32 s60, s60, 0x800                                  // 000000002E94: 923CFF3C 00000800
	s_add_u32 s24, s60, s24                                    // 000000002E9C: 8018183C
	s_addc_u32 s25, 0, s25                                     // 000000002EA0: 82191980
	s_lshr_b32 s60, s69, s88                                   // 000000002EA4: 8F3C5845
	s_mul_i32 s60, s4, s60                                     // 000000002EA8: 923C3C04
	s_add_u32 s20, s60, s20                                    // 000000002EAC: 8014143C
	s_addc_u32 s21, 0, s21                                     // 000000002EB0: 82151580
	s_mul_i32 s60, s7, 16                                      // 000000002EB4: 923C9007
	s_mul_i32 s60, s60, s69                                    // 000000002EB8: 923C453C
	v_lshlrev_b32_e32 v72, 4, v0                               // 000000002EBC: 24900084
	v_add_u32_e32 v72, s60, v72                                // 000000002EC0: 6890903C
	s_mul_i32 s60, 64, s69                                     // 000000002EC4: 923C45C0
	s_mov_b32 s84, s24                                         // 000000002EC8: BED40018
	s_mov_b32 s85, s25                                         // 000000002ECC: BED50019
	s_mov_b32 s86, s26                                         // 000000002ED0: BED6001A
	s_mov_b32 s87, s27                                         // 000000002ED4: BED7001B
	s_mul_i32 s60, s69, s65                                    // 000000002ED8: 923C4145
	s_add_u32 s84, s60, s84                                    // 000000002EDC: 8054543C
	s_addc_u32 s85, 0, s85                                     // 000000002EE0: 82555580
	v_lshrrev_b32_e32 v4, 4, v0                                // 000000002EE4: 20080084
	v_lshlrev_b32_e32 v5, 2, v4                                // 000000002EE8: 240A0882
	v_and_b32_e32 v4, 15, v0                                   // 000000002EEC: 2608008F
	v_lshrrev_b32_e32 v6, 2, v4                                // 000000002EF0: 200C0882
	v_lshlrev_b32_e32 v6, 6, v6                                // 000000002EF4: 240C0C86
	v_add_u32_e32 v5, v6, v5                                   // 000000002EF8: 680A0B06
	v_and_b32_e32 v4, 3, v0                                    // 000000002EFC: 26080083
	v_add_u32_e32 v5, v4, v5                                   // 000000002F00: 680A0B04
	v_lshlrev_b32_e32 v22, 2, v5                               // 000000002F04: 242C0A82
	s_mul_i32 s60, s7, 16                                      // 000000002F08: 923C9007
	s_mul_i32 s60, s60, 4                                      // 000000002F0C: 923C843C
	v_add_u32_e32 v22, s60, v22                                // 000000002F10: 682C2C3C
	s_mul_i32 s60, s2, 64                                      // 000000002F14: 923CC002
	s_mul_i32 s60, s60, 4                                      // 000000002F18: 923C843C
	s_mul_i32 s61, s5, s74                                     // 000000002F1C: 923D4A05
	s_add_u32 s61, s61, s60                                    // 000000002F20: 803D3C3D
	s_add_u32 s32, s61, s32                                    // 000000002F24: 8020203D
	s_addc_u32 s33, 0, s33                                     // 000000002F28: 82212180
	s_mov_b32 s57, 0x80                                        // 000000002F2C: BEB900FF 00000080
	s_mov_b32 s58, 0x800                                       // 000000002F34: BEBA00FF 00000800
	s_mov_b32 s83, s58                                         // 000000002F3C: BED3003A
	s_mov_b32 s52, 0x7060302                                   // 000000002F40: BEB400FF 07060302
	s_mov_b32 s53, 0x400                                       // 000000002F48: BEB500FF 00000400
	s_mov_b32 s54, 0x40100                                     // 000000002F50: BEB600FF 00040100
	s_mov_b32 s55, 0x4020100                                   // 000000002F58: BEB700FF 04020100
	s_mov_b32 s6, 0x3fb8aa3b                                   // 000000002F60: BE8600FF 3FB8AA3B
	s_mov_b32 s78, 0xbd92220c                                  // 000000002F68: BECE00FF BD92220C
	s_mov_b32 s79, 0xbd92220c                                  // 000000002F70: BECF00FF BD92220C
	s_mov_b32 m0, s48                                          // 000000002F78: BEFC0030
	v_mov_b32_e32 v1, 0xbfcc4231                               // 000000002F7C: 7E0202FF BFCC4231
	v_mov_b32_e32 v17, 0xffff0000                              // 000000002F84: 7E2202FF FFFF0000
	v_mov_b32_e32 v18, 0x7fff0000                              // 000000002F8C: 7E2402FF 7FFF0000
	v_mov_b32_e32 v19, 0x7fff                                  // 000000002F94: 7E2602FF 00007FFF
	s_waitcnt vmcnt(0) expcnt(0) lgkmcnt(0)                    // 000000002F9C: BF8C0000
	s_mul_i32 s60, s3, 0x70                                    // 000000002FA0: 923CFF03 00000070
	s_mul_i32 s60, 4, s60                                      // 000000002FA8: 923C3C84
	s_add_u32 s40, s60, s40                                    // 000000002FAC: 8028283C
	s_addc_u32 s41, 0, s41                                     // 000000002FB0: 82292980
	v_and_b32_e32 v4, 15, v0                                   // 000000002FB4: 2608008F
	v_lshlrev_b32_e32 v4, 2, v4                                // 000000002FB8: 24080882
	buffer_load_dword v132, v4, s[40:43], 0 offen              // 000000002FBC: E0501000 800A8404
	buffer_load_dword v133, v4, s[40:43], 0 offen offset:64    // 000000002FC4: E0501040 800A8504
	buffer_load_dword v134, v4, s[40:43], 0 offen offset:128   // 000000002FCC: E0501080 800A8604
	buffer_load_dword v135, v4, s[40:43], 0 offen offset:192   // 000000002FD4: E05010C0 800A8704
	buffer_load_dword v136, v4, s[40:43], 0 offen offset:256   // 000000002FDC: E0501100 800A8804
	buffer_load_dword v137, v4, s[40:43], 0 offen offset:320   // 000000002FE4: E0501140 800A8904
	buffer_load_dword v138, v4, s[40:43], 0 offen offset:384   // 000000002FEC: E0501180 800A8A04
	v_lshrrev_b32_e32 v4, 5, v0                                // 000000002FF4: 20080085
	v_xor_b32_e32 v5, 1, v4                                    // 000000002FF8: 2A0A0881
	v_readlane_b32 s82, v3, 0                                  // 000000002FFC: D2890052 00010103
	s_and_b32 s82, s82, 0xffffff                               // 000000003004: 8652FF52 00FFFFFF
	v_mul_lo_u32 v6, v5, s82                                   // 00000000300C: D2850006 0000A505
	v_readlane_b32 s82, v3, 1                                  // 000000003014: D2890052 00010303
	s_and_b32 s82, s82, 0xffffff                               // 00000000301C: 8652FF52 00FFFFFF
	v_mul_lo_u32 v7, v4, s82                                   // 000000003024: D2850007 0000A504
	v_add_u32_e32 v58, v6, v7                                  // 00000000302C: 68740F06
	v_mul_lo_u32 v58, v58, s68                                 // 000000003030: D285003A 0000893A
	v_readlane_b32 s82, v3, 2                                  // 000000003038: D2890052 00010503
	s_and_b32 s82, s82, 0xffffff                               // 000000003040: 8652FF52 00FFFFFF
	v_mul_lo_u32 v6, v5, s82                                   // 000000003048: D2850006 0000A505
	v_readlane_b32 s82, v3, 3                                  // 000000003050: D2890052 00010703
	s_and_b32 s82, s82, 0xffffff                               // 000000003058: 8652FF52 00FFFFFF
	v_mul_lo_u32 v7, v4, s82                                   // 000000003060: D2850007 0000A504
	v_add_u32_e32 v59, v6, v7                                  // 000000003068: 68760F06
	v_mul_lo_u32 v59, v59, s68                                 // 00000000306C: D285003B 0000893B
	v_readlane_b32 s82, v3, 4                                  // 000000003074: D2890052 00010903
	s_and_b32 s82, s82, 0xffffff                               // 00000000307C: 8652FF52 00FFFFFF
	v_mul_lo_u32 v6, v5, s82                                   // 000000003084: D2850006 0000A505
	v_readlane_b32 s82, v3, 5                                  // 00000000308C: D2890052 00010B03
	s_and_b32 s82, s82, 0xffffff                               // 000000003094: 8652FF52 00FFFFFF
	v_mul_lo_u32 v7, v4, s82                                   // 00000000309C: D2850007 0000A504
	v_add_u32_e32 v60, v6, v7                                  // 0000000030A4: 68780F06
	v_mul_lo_u32 v60, v60, s68                                 // 0000000030A8: D285003C 0000893C
	v_readlane_b32 s82, v3, 6                                  // 0000000030B0: D2890052 00010D03
	s_and_b32 s82, s82, 0xffffff                               // 0000000030B8: 8652FF52 00FFFFFF
	v_mul_lo_u32 v6, v5, s82                                   // 0000000030C0: D2850006 0000A505
	v_readlane_b32 s82, v3, 7                                  // 0000000030C8: D2890052 00010F03
	s_and_b32 s82, s82, 0xffffff                               // 0000000030D0: 8652FF52 00FFFFFF
	v_mul_lo_u32 v7, v4, s82                                   // 0000000030D8: D2850007 0000A504
	v_add_u32_e32 v61, v6, v7                                  // 0000000030E0: 687A0F06
	v_mul_lo_u32 v61, v61, s68                                 // 0000000030E4: D285003D 0000893D
	v_readlane_b32 s82, v3, 8                                  // 0000000030EC: D2890052 00011103
	s_and_b32 s82, s82, 0xffffff                               // 0000000030F4: 8652FF52 00FFFFFF
	v_mul_lo_u32 v6, v5, s82                                   // 0000000030FC: D2850006 0000A505
	v_readlane_b32 s82, v3, 9                                  // 000000003104: D2890052 00011303
	s_and_b32 s82, s82, 0xffffff                               // 00000000310C: 8652FF52 00FFFFFF
	v_mul_lo_u32 v7, v4, s82                                   // 000000003114: D2850007 0000A504
	v_add_u32_e32 v62, v6, v7                                  // 00000000311C: 687C0F06
	v_mul_lo_u32 v62, v62, s68                                 // 000000003120: D285003E 0000893E
	v_readlane_b32 s82, v3, 10                                 // 000000003128: D2890052 00011503
	s_and_b32 s82, s82, 0xffffff                               // 000000003130: 8652FF52 00FFFFFF
	v_mul_lo_u32 v6, v5, s82                                   // 000000003138: D2850006 0000A505
	v_readlane_b32 s82, v3, 11                                 // 000000003140: D2890052 00011703
	s_and_b32 s82, s82, 0xffffff                               // 000000003148: 8652FF52 00FFFFFF
	v_mul_lo_u32 v7, v4, s82                                   // 000000003150: D2850007 0000A504
	v_add_u32_e32 v63, v6, v7                                  // 000000003158: 687E0F06
	v_mul_lo_u32 v63, v63, s68                                 // 00000000315C: D285003F 0000893F
	v_readlane_b32 s82, v3, 12                                 // 000000003164: D2890052 00011903
	s_and_b32 s82, s82, 0xffffff                               // 00000000316C: 8652FF52 00FFFFFF
	v_mul_lo_u32 v6, v5, s82                                   // 000000003174: D2850006 0000A505
	v_readlane_b32 s82, v3, 13                                 // 00000000317C: D2890052 00011B03
	s_and_b32 s82, s82, 0xffffff                               // 000000003184: 8652FF52 00FFFFFF
	v_mul_lo_u32 v7, v4, s82                                   // 00000000318C: D2850007 0000A504
	v_add_u32_e32 v64, v6, v7                                  // 000000003194: 68800F06
	v_mul_lo_u32 v64, v64, s68                                 // 000000003198: D2850040 00008940
	v_readlane_b32 s82, v3, 14                                 // 0000000031A0: D2890052 00011D03
	s_and_b32 s82, s82, 0xffffff                               // 0000000031A8: 8652FF52 00FFFFFF
	v_mul_lo_u32 v6, v5, s82                                   // 0000000031B0: D2850006 0000A505
	v_readlane_b32 s82, v3, 15                                 // 0000000031B8: D2890052 00011F03
	s_and_b32 s82, s82, 0xffffff                               // 0000000031C0: 8652FF52 00FFFFFF
	v_mul_lo_u32 v7, v4, s82                                   // 0000000031C8: D2850007 0000A504
	v_add_u32_e32 v65, v6, v7                                  // 0000000031D0: 68820F06
	v_mul_lo_u32 v65, v65, s68                                 // 0000000031D4: D2850041 00008941
	v_readlane_b32 s82, v3, 16                                 // 0000000031DC: D2890052 00012103
	s_and_b32 s82, s82, 0xffffff                               // 0000000031E4: 8652FF52 00FFFFFF
	v_mul_lo_u32 v6, v5, s82                                   // 0000000031EC: D2850006 0000A505
	v_readlane_b32 s82, v3, 17                                 // 0000000031F4: D2890052 00012303
	s_and_b32 s82, s82, 0xffffff                               // 0000000031FC: 8652FF52 00FFFFFF
	v_mul_lo_u32 v7, v4, s82                                   // 000000003204: D2850007 0000A504
	v_add_u32_e32 v66, v6, v7                                  // 00000000320C: 68840F06
	v_mul_lo_u32 v66, v66, s68                                 // 000000003210: D2850042 00008942
	v_readlane_b32 s82, v3, 18                                 // 000000003218: D2890052 00012503
	s_and_b32 s82, s82, 0xffffff                               // 000000003220: 8652FF52 00FFFFFF
	v_mul_lo_u32 v6, v5, s82                                   // 000000003228: D2850006 0000A505
	v_readlane_b32 s82, v3, 19                                 // 000000003230: D2890052 00012703
	s_and_b32 s82, s82, 0xffffff                               // 000000003238: 8652FF52 00FFFFFF
	v_mul_lo_u32 v7, v4, s82                                   // 000000003240: D2850007 0000A504
	v_add_u32_e32 v67, v6, v7                                  // 000000003248: 68860F06
	v_mul_lo_u32 v67, v67, s68                                 // 00000000324C: D2850043 00008943
	v_readlane_b32 s82, v3, 20                                 // 000000003254: D2890052 00012903
	s_and_b32 s82, s82, 0xffffff                               // 00000000325C: 8652FF52 00FFFFFF
	v_mul_lo_u32 v6, v5, s82                                   // 000000003264: D2850006 0000A505
	v_readlane_b32 s82, v3, 21                                 // 00000000326C: D2890052 00012B03
	s_and_b32 s82, s82, 0xffffff                               // 000000003274: 8652FF52 00FFFFFF
	v_mul_lo_u32 v7, v4, s82                                   // 00000000327C: D2850007 0000A504
	v_add_u32_e32 v68, v6, v7                                  // 000000003284: 68880F06
	v_mul_lo_u32 v68, v68, s68                                 // 000000003288: D2850044 00008944
	v_readlane_b32 s82, v3, 22                                 // 000000003290: D2890052 00012D03
	s_and_b32 s82, s82, 0xffffff                               // 000000003298: 8652FF52 00FFFFFF
	v_mul_lo_u32 v6, v5, s82                                   // 0000000032A0: D2850006 0000A505
	v_readlane_b32 s82, v3, 23                                 // 0000000032A8: D2890052 00012F03
	s_and_b32 s82, s82, 0xffffff                               // 0000000032B0: 8652FF52 00FFFFFF
	v_mul_lo_u32 v7, v4, s82                                   // 0000000032B8: D2850007 0000A504
	v_add_u32_e32 v69, v6, v7                                  // 0000000032C0: 688A0F06
	v_mul_lo_u32 v69, v69, s68                                 // 0000000032C4: D2850045 00008945
	v_readlane_b32 s82, v3, 24                                 // 0000000032CC: D2890052 00013103
	s_and_b32 s82, s82, 0xffffff                               // 0000000032D4: 8652FF52 00FFFFFF
	v_mul_lo_u32 v6, v5, s82                                   // 0000000032DC: D2850006 0000A505
	v_readlane_b32 s82, v3, 25                                 // 0000000032E4: D2890052 00013303
	s_and_b32 s82, s82, 0xffffff                               // 0000000032EC: 8652FF52 00FFFFFF
	v_mul_lo_u32 v7, v4, s82                                   // 0000000032F4: D2850007 0000A504
	v_add_u32_e32 v70, v6, v7                                  // 0000000032FC: 688C0F06
	v_mul_lo_u32 v70, v70, s68                                 // 000000003300: D2850046 00008946
	v_readlane_b32 s82, v3, 26                                 // 000000003308: D2890052 00013503
	s_and_b32 s82, s82, 0xffffff                               // 000000003310: 8652FF52 00FFFFFF
	v_mul_lo_u32 v6, v5, s82                                   // 000000003318: D2850006 0000A505
	v_readlane_b32 s82, v3, 27                                 // 000000003320: D2890052 00013703
	s_and_b32 s82, s82, 0xffffff                               // 000000003328: 8652FF52 00FFFFFF
	v_mul_lo_u32 v7, v4, s82                                   // 000000003330: D2850007 0000A504
	v_add_u32_e32 v71, v6, v7                                  // 000000003338: 688E0F06
	v_mul_lo_u32 v71, v71, s68                                 // 00000000333C: D2850047 00008947
	v_and_b32_e32 v4, 31, v0                                   // 000000003344: 2608009F
	v_lshlrev_b32_e32 v4, 2, v4                                // 000000003348: 24080882
	v_add_u32_e32 v58, v58, v4                                 // 00000000334C: 6874093A
	v_add_u32_e32 v59, v59, v4                                 // 000000003350: 6876093B
	v_add_u32_e32 v60, v60, v4                                 // 000000003354: 6878093C
	v_add_u32_e32 v61, v61, v4                                 // 000000003358: 687A093D
	v_add_u32_e32 v62, v62, v4                                 // 00000000335C: 687C093E
	v_add_u32_e32 v63, v63, v4                                 // 000000003360: 687E093F
	v_add_u32_e32 v64, v64, v4                                 // 000000003364: 68800940
	v_add_u32_e32 v65, v65, v4                                 // 000000003368: 68820941
	v_add_u32_e32 v66, v66, v4                                 // 00000000336C: 68840942
	v_add_u32_e32 v67, v67, v4                                 // 000000003370: 68860943
	v_add_u32_e32 v68, v68, v4                                 // 000000003374: 68880944
	v_add_u32_e32 v69, v69, v4                                 // 000000003378: 688A0945
	v_add_u32_e32 v70, v70, v4                                 // 00000000337C: 688C0946
	v_add_u32_e32 v71, v71, v4                                 // 000000003380: 688E0947
	v_and_b32_e32 v30, 0xffffff, v30                           // 000000003384: 263C3CFF 00FFFFFF
	v_lshlrev_b32_e32 v30, 2, v30                              // 00000000338C: 243C3C82
	v_and_b32_e32 v31, 0xffffff, v31                           // 000000003390: 263E3EFF 00FFFFFF
	v_lshlrev_b32_e32 v31, 2, v31                              // 000000003398: 243E3E82
	v_and_b32_e32 v32, 0xffffff, v32                           // 00000000339C: 264040FF 00FFFFFF
	v_lshlrev_b32_e32 v32, 2, v32                              // 0000000033A4: 24404082
	v_and_b32_e32 v33, 0xffffff, v33                           // 0000000033A8: 264242FF 00FFFFFF
	v_lshlrev_b32_e32 v33, 2, v33                              // 0000000033B0: 24424282
	v_and_b32_e32 v34, 0xffffff, v34                           // 0000000033B4: 264444FF 00FFFFFF
	v_lshlrev_b32_e32 v34, 2, v34                              // 0000000033BC: 24444482
	v_and_b32_e32 v35, 0xffffff, v35                           // 0000000033C0: 264646FF 00FFFFFF
	v_lshlrev_b32_e32 v35, 2, v35                              // 0000000033C8: 24464682
	v_and_b32_e32 v36, 0xffffff, v36                           // 0000000033CC: 264848FF 00FFFFFF
	v_lshlrev_b32_e32 v36, 2, v36                              // 0000000033D4: 24484882
	s_lshl_b32 s3, s66, 2                                      // 0000000033D8: 8E038242
	buffer_load_dword v37, v30, s[28:31], 0 offen              // 0000000033DC: E0501000 8007251E
	buffer_load_dword v38, v31, s[28:31], 0 offen              // 0000000033E4: E0501000 8007261F
	buffer_load_dword v39, v32, s[28:31], 0 offen              // 0000000033EC: E0501000 80072720
	buffer_load_dword v40, v33, s[28:31], 0 offen              // 0000000033F4: E0501000 80072821
	buffer_load_dword v41, v34, s[28:31], 0 offen              // 0000000033FC: E0501000 80072922
	buffer_load_dword v42, v35, s[28:31], 0 offen              // 000000003404: E0501000 80072A23
	buffer_load_dword v43, v36, s[28:31], 0 offen              // 00000000340C: E0501000 80072B24
	buffer_load_dword v24, v22, s[32:35], 0 offen              // 000000003414: E0501000 80081816
	s_mul_i32 s60, 4, s65                                      // 00000000341C: 923C4184
	s_add_u32 s32, s60, s32                                    // 000000003420: 8020203C
	s_addc_u32 s33, 0, s33                                     // 000000003424: 82212180
	buffer_load_dword v27, v22, s[32:35], 0 offen              // 000000003428: E0501000 80081B16
	buffer_load_dword v58, s[20:23], 0 offen lds               // 000000003430: E0511000 8005003A
	s_add_u32 m0, 0x100, s48                                   // 000000003438: 807C30FF 00000100
	buffer_load_dword v59, s[20:23], 0 offen lds               // 000000003440: E0511000 8005003B
	s_add_u32 m0, 0x200, s48                                   // 000000003448: 807C30FF 00000200
	buffer_load_dword v60, s[20:23], 0 offen lds               // 000000003450: E0511000 8005003C
	s_add_u32 m0, 0x300, s48                                   // 000000003458: 807C30FF 00000300
	buffer_load_dword v61, s[20:23], 0 offen lds               // 000000003460: E0511000 8005003D
	s_add_u32 m0, 0x400, s48                                   // 000000003468: 807C30FF 00000400
	buffer_load_dword v62, s[20:23], 0 offen lds               // 000000003470: E0511000 8005003E
	s_add_u32 m0, 0x500, s48                                   // 000000003478: 807C30FF 00000500
	buffer_load_dword v63, s[20:23], 0 offen lds               // 000000003480: E0511000 8005003F
	s_add_u32 m0, 0x600, s48                                   // 000000003488: 807C30FF 00000600
	buffer_load_dword v64, s[20:23], 0 offen lds               // 000000003490: E0511000 80050040
	s_add_u32 m0, 0x700, s48                                   // 000000003498: 807C30FF 00000700
	buffer_load_dword v65, s[20:23], 0 offen lds               // 0000000034A0: E0511000 80050041
	s_add_u32 m0, 0x800, s48                                   // 0000000034A8: 807C30FF 00000800
	buffer_load_dword v66, s[20:23], 0 offen lds               // 0000000034B0: E0511000 80050042
	s_add_u32 m0, 0x900, s48                                   // 0000000034B8: 807C30FF 00000900
	buffer_load_dword v67, s[20:23], 0 offen lds               // 0000000034C0: E0511000 80050043
	s_add_u32 m0, 0xa00, s48                                   // 0000000034C8: 807C30FF 00000A00
	buffer_load_dword v68, s[20:23], 0 offen lds               // 0000000034D0: E0511000 80050044
	s_add_u32 m0, 0xb00, s48                                   // 0000000034D8: 807C30FF 00000B00
	buffer_load_dword v69, s[20:23], 0 offen lds               // 0000000034E0: E0511000 80050045
	s_add_u32 m0, 0xc00, s48                                   // 0000000034E8: 807C30FF 00000C00
	buffer_load_dword v70, s[20:23], 0 offen lds               // 0000000034F0: E0511000 80050046
	s_add_u32 m0, 0xd00, s48                                   // 0000000034F8: 807C30FF 00000D00
	buffer_load_dword v71, s[20:23], 0 offen lds               // 000000003500: E0511000 80050047
	s_add_u32 m0, 0, s49                                       // 000000003508: 807C3180
	s_add_u32 s20, s57, s20                                    // 00000000350C: 80141439
	s_addc_u32 s21, 0, s21                                     // 000000003510: 82151580
	buffer_load_dwordx4 a[112:115], v72, s[24:27], 0 offen     // 000000003514: E05C1000 80867048
	buffer_load_dwordx4 a[116:119], v72, s[24:27], 0 offen offset:1024// 00000000351C: E05C1400 80867448
	s_add_u32 s24, s58, s24                                    // 000000003524: 8018183A
	s_addc_u32 s25, 0, s25                                     // 000000003528: 82191980
	buffer_load_dword v58, s[20:23], 0 offen lds               // 00000000352C: E0511000 8005003A
	s_add_u32 m0, 0x100, s49                                   // 000000003534: 807C31FF 00000100
	buffer_load_dword v59, s[20:23], 0 offen lds               // 00000000353C: E0511000 8005003B
	s_add_u32 m0, 0x200, s49                                   // 000000003544: 807C31FF 00000200
	buffer_load_dword v60, s[20:23], 0 offen lds               // 00000000354C: E0511000 8005003C
	s_add_u32 m0, 0x300, s49                                   // 000000003554: 807C31FF 00000300
	buffer_load_dword v61, s[20:23], 0 offen lds               // 00000000355C: E0511000 8005003D
	s_add_u32 m0, 0x400, s49                                   // 000000003564: 807C31FF 00000400
	buffer_load_dword v62, s[20:23], 0 offen lds               // 00000000356C: E0511000 8005003E
	s_add_u32 m0, 0x500, s49                                   // 000000003574: 807C31FF 00000500
	buffer_load_dword v63, s[20:23], 0 offen lds               // 00000000357C: E0511000 8005003F
	s_add_u32 m0, 0x600, s49                                   // 000000003584: 807C31FF 00000600
	buffer_load_dword v64, s[20:23], 0 offen lds               // 00000000358C: E0511000 80050040
	s_add_u32 m0, 0x700, s49                                   // 000000003594: 807C31FF 00000700
	buffer_load_dword v65, s[20:23], 0 offen lds               // 00000000359C: E0511000 80050041
	s_add_u32 m0, 0x800, s49                                   // 0000000035A4: 807C31FF 00000800
	buffer_load_dword v66, s[20:23], 0 offen lds               // 0000000035AC: E0511000 80050042
	s_add_u32 m0, 0x900, s49                                   // 0000000035B4: 807C31FF 00000900
	buffer_load_dword v67, s[20:23], 0 offen lds               // 0000000035BC: E0511000 80050043
	s_add_u32 m0, 0xa00, s49                                   // 0000000035C4: 807C31FF 00000A00
	buffer_load_dword v68, s[20:23], 0 offen lds               // 0000000035CC: E0511000 80050044
	s_add_u32 m0, 0xb00, s49                                   // 0000000035D4: 807C31FF 00000B00
	buffer_load_dword v69, s[20:23], 0 offen lds               // 0000000035DC: E0511000 80050045
	s_add_u32 m0, 0xc00, s49                                   // 0000000035E4: 807C31FF 00000C00
	buffer_load_dword v70, s[20:23], 0 offen lds               // 0000000035EC: E0511000 80050046
	s_add_u32 m0, 0xd00, s49                                   // 0000000035F4: 807C31FF 00000D00
	buffer_load_dword v71, s[20:23], 0 offen lds               // 0000000035FC: E0511000 80050047
	s_add_u32 m0, 0, s50                                       // 000000003604: 807C3280
	s_add_u32 s20, s57, s20                                    // 000000003608: 80141439
	s_addc_u32 s21, 0, s21                                     // 00000000360C: 82151580
	buffer_load_dwordx4 a[120:123], v72, s[84:87], 0 offen     // 000000003610: E05C1000 80957848
	buffer_load_dwordx4 a[124:127], v72, s[84:87], 0 offen offset:1024// 000000003618: E05C1400 80957C48
	s_add_u32 s84, s83, s84                                    // 000000003620: 80545453
	s_addc_u32 s85, 0, s85                                     // 000000003624: 82555580
	s_waitcnt vmcnt(18)                                        // 000000003628: BF8C4F72
	s_barrier                                                  // 00000000362C: BF8A0000
	ds_read_b128 a[0:3], v2                                    // 000000003630: DBFE0000 00000002
	ds_read_b128 a[4:7], v2 offset:64                          // 000000003638: DBFE0040 04000002
	ds_read_b128 a[8:11], v2 offset:512                        // 000000003640: DBFE0200 08000002
	ds_read_b128 a[12:15], v2 offset:576                       // 000000003648: DBFE0240 0C000002
	ds_read_b128 a[16:19], v2 offset:1024                      // 000000003650: DBFE0400 10000002
	ds_read_b128 a[20:23], v2 offset:1088                      // 000000003658: DBFE0440 14000002
	ds_read_b128 a[24:27], v2 offset:1536                      // 000000003660: DBFE0600 18000002
	ds_read_b128 a[28:31], v2 offset:1600                      // 000000003668: DBFE0640 1C000002
	ds_read_b128 a[32:35], v2 offset:2048                      // 000000003670: DBFE0800 20000002
	ds_read_b128 a[36:39], v2 offset:2112                      // 000000003678: DBFE0840 24000002
	ds_read_b128 a[40:43], v2 offset:2560                      // 000000003680: DBFE0A00 28000002
	ds_read_b128 a[44:47], v2 offset:2624                      // 000000003688: DBFE0A40 2C000002
	ds_read_b128 a[48:51], v2 offset:3072                      // 000000003690: DBFE0C00 30000002
	ds_read_b128 a[52:55], v2 offset:3136                      // 000000003698: DBFE0C40 34000002
	s_cmp_lt_i32 s7, 2                                         // 0000000036A0: BF048207
	s_cbranch_scc0 label_146C                                  // 0000000036A4: BF84113F

00000000000036a8 <label_032A>:
	s_waitcnt vmcnt(16) lgkmcnt(0)                             // 0000000036A8: BF8C4070
	v_mfma_f32_16x16x32_fp8_fp8 v[76:79], a[112:113], a[0:1], v[76:79]// 0000000036AC: D3F3004C 1D320170
	v_mfma_f32_16x16x32_fp8_fp8 v[76:79], a[114:115], a[2:3], v[76:79]// 0000000036B4: D3F3004C 1D320572
	buffer_load_dwordx4 a[128:131], v72, s[24:27], 0 offen     // 0000000036BC: E05C1000 80868048
	v_mfma_f32_16x16x32_fp8_fp8 v[76:79], a[116:117], a[4:5], v[76:79]// 0000000036C4: D3F3004C 1D320974
	v_mfma_f32_16x16x32_fp8_fp8 v[76:79], a[118:119], a[6:7], v[76:79]// 0000000036CC: D3F3004C 1D320D76
	v_mfma_f32_16x16x32_fp8_fp8 v[80:83], a[112:113], a[8:9], v[80:83]// 0000000036D4: D3F30050 1D421170
	v_mfma_f32_16x16x32_fp8_fp8 v[80:83], a[114:115], a[10:11], v[80:83]// 0000000036DC: D3F30050 1D421572
	buffer_load_dwordx4 a[132:135], v72, s[24:27], 0 offen offset:1024// 0000000036E4: E05C1400 80868448
	buffer_load_dword v58, s[20:23], 0 offen lds               // 0000000036EC: E0511000 8005003A
	s_add_u32 m0, 0x100, s50                                   // 0000000036F4: 807C32FF 00000100
	v_mfma_f32_16x16x32_fp8_fp8 v[80:83], a[116:117], a[12:13], v[80:83]// 0000000036FC: D3F30050 1D421974
	v_mfma_f32_16x16x32_fp8_fp8 v[80:83], a[118:119], a[14:15], v[80:83]// 000000003704: D3F30050 1D421D76
	buffer_load_dword v59, s[20:23], 0 offen lds               // 00000000370C: E0511000 8005003B
	s_add_u32 m0, 0x200, s50                                   // 000000003714: 807C32FF 00000200
	v_mfma_f32_16x16x32_fp8_fp8 v[84:87], a[112:113], a[16:17], v[84:87]// 00000000371C: D3F30054 1D522170
	v_mfma_f32_16x16x32_fp8_fp8 v[84:87], a[114:115], a[18:19], v[84:87]// 000000003724: D3F30054 1D522572
	buffer_load_dword v60, s[20:23], 0 offen lds               // 00000000372C: E0511000 8005003C
	s_add_u32 m0, 0x300, s50                                   // 000000003734: 807C32FF 00000300
	v_mfma_f32_16x16x32_fp8_fp8 v[84:87], a[116:117], a[20:21], v[84:87]// 00000000373C: D3F30054 1D522974
	v_mfma_f32_16x16x32_fp8_fp8 v[84:87], a[118:119], a[22:23], v[84:87]// 000000003744: D3F30054 1D522D76
	buffer_load_dword v61, s[20:23], 0 offen lds               // 00000000374C: E0511000 8005003D
	s_add_u32 m0, 0x400, s50                                   // 000000003754: 807C32FF 00000400
	v_mfma_f32_16x16x32_fp8_fp8 v[88:91], a[112:113], a[24:25], v[88:91]// 00000000375C: D3F30058 1D623170
	v_mfma_f32_16x16x32_fp8_fp8 v[88:91], a[114:115], a[26:27], v[88:91]// 000000003764: D3F30058 1D623572
	buffer_load_dword v62, s[20:23], 0 offen lds               // 00000000376C: E0511000 8005003E
	s_add_u32 m0, 0x500, s50                                   // 000000003774: 807C32FF 00000500
	v_mfma_f32_16x16x32_fp8_fp8 v[88:91], a[116:117], a[28:29], v[88:91]// 00000000377C: D3F30058 1D623974
	v_mfma_f32_16x16x32_fp8_fp8 v[88:91], a[118:119], a[30:31], v[88:91]// 000000003784: D3F30058 1D623D76
	buffer_load_dword v63, s[20:23], 0 offen lds               // 00000000378C: E0511000 8005003F
	s_add_u32 m0, 0x600, s50                                   // 000000003794: 807C32FF 00000600
	v_mfma_f32_16x16x32_fp8_fp8 v[92:95], a[112:113], a[32:33], v[92:95]// 00000000379C: D3F3005C 1D724170
	v_mfma_f32_16x16x32_fp8_fp8 v[92:95], a[114:115], a[34:35], v[92:95]// 0000000037A4: D3F3005C 1D724572
	buffer_load_dword v64, s[20:23], 0 offen lds               // 0000000037AC: E0511000 80050040
	s_add_u32 m0, 0x700, s50                                   // 0000000037B4: 807C32FF 00000700
	v_mfma_f32_16x16x32_fp8_fp8 v[92:95], a[116:117], a[36:37], v[92:95]// 0000000037BC: D3F3005C 1D724974
	v_mfma_f32_16x16x32_fp8_fp8 v[92:95], a[118:119], a[38:39], v[92:95]// 0000000037C4: D3F3005C 1D724D76
	buffer_load_dword v65, s[20:23], 0 offen lds               // 0000000037CC: E0511000 80050041
	s_add_u32 m0, 0x800, s50                                   // 0000000037D4: 807C32FF 00000800
	v_mfma_f32_16x16x32_fp8_fp8 v[96:99], a[112:113], a[40:41], v[96:99]// 0000000037DC: D3F30060 1D825170
	v_mfma_f32_16x16x32_fp8_fp8 v[96:99], a[114:115], a[42:43], v[96:99]// 0000000037E4: D3F30060 1D825572
	buffer_load_dword v66, s[20:23], 0 offen lds               // 0000000037EC: E0511000 80050042
	s_add_u32 m0, 0x900, s50                                   // 0000000037F4: 807C32FF 00000900
	v_mfma_f32_16x16x32_fp8_fp8 v[96:99], a[116:117], a[44:45], v[96:99]// 0000000037FC: D3F30060 1D825974
	v_mfma_f32_16x16x32_fp8_fp8 v[96:99], a[118:119], a[46:47], v[96:99]// 000000003804: D3F30060 1D825D76
	buffer_load_dword v67, s[20:23], 0 offen lds               // 00000000380C: E0511000 80050043
	s_add_u32 m0, 0xa00, s50                                   // 000000003814: 807C32FF 00000A00
	v_mfma_f32_16x16x32_fp8_fp8 v[100:103], a[112:113], a[48:49], v[100:103]// 00000000381C: D3F30064 1D926170
	v_mfma_f32_16x16x32_fp8_fp8 v[100:103], a[114:115], a[50:51], v[100:103]// 000000003824: D3F30064 1D926572
	buffer_load_dword v68, s[20:23], 0 offen lds               // 00000000382C: E0511000 80050044
	s_add_u32 m0, 0xb00, s50                                   // 000000003834: 807C32FF 00000B00
	v_mfma_f32_16x16x32_fp8_fp8 v[100:103], a[116:117], a[52:53], v[100:103]// 00000000383C: D3F30064 1D926974
	v_mfma_f32_16x16x32_fp8_fp8 v[100:103], a[118:119], a[54:55], v[100:103]// 000000003844: D3F30064 1D926D76
	buffer_load_dword v69, s[20:23], 0 offen lds               // 00000000384C: E0511000 80050045
	s_add_u32 m0, 0xc00, s50                                   // 000000003854: 807C32FF 00000C00
	buffer_load_dword v70, s[20:23], 0 offen lds               // 00000000385C: E0511000 80050046
	s_add_u32 m0, 0xd00, s50                                   // 000000003864: 807C32FF 00000D00
	buffer_load_dword v71, s[20:23], 0 offen lds               // 00000000386C: E0511000 80050047
	s_add_u32 m0, 0, s48                                       // 000000003874: 807C3080
	s_waitcnt vmcnt(16)                                        // 000000003878: BF8C4F70
	s_barrier                                                  // 00000000387C: BF8A0000
	v_mfma_f32_16x16x32_fp8_fp8 v[104:107], a[120:121], a[0:1], v[104:107]// 000000003880: D3F30068 1DA20178
	v_mfma_f32_16x16x32_fp8_fp8 v[104:107], a[122:123], a[2:3], v[104:107]// 000000003888: D3F30068 1DA2057A
	buffer_load_dwordx4 a[112:115], v72, s[84:87], 0 offen     // 000000003890: E05C1000 80957048
	v_mfma_f32_16x16x32_fp8_fp8 v[104:107], a[124:125], a[4:5], v[104:107]// 000000003898: D3F30068 1DA2097C
	v_mfma_f32_16x16x32_fp8_fp8 v[104:107], a[126:127], a[6:7], v[104:107]// 0000000038A0: D3F30068 1DA20D7E
	ds_read_b128 a[56:59], v2 offset:14464                     // 0000000038A8: DBFE3880 38000002
	ds_read_b128 a[60:63], v2 offset:14528                     // 0000000038B0: DBFE38C0 3C000002
	v_mfma_f32_16x16x32_fp8_fp8 v[108:111], a[120:121], a[8:9], v[108:111]// 0000000038B8: D3F3006C 1DB21178
	v_mfma_f32_16x16x32_fp8_fp8 v[108:111], a[122:123], a[10:11], v[108:111]// 0000000038C0: D3F3006C 1DB2157A
	buffer_load_dwordx4 a[116:119], v72, s[84:87], 0 offen offset:1024// 0000000038C8: E05C1400 80957448
	v_mfma_f32_16x16x32_fp8_fp8 v[108:111], a[124:125], a[12:13], v[108:111]// 0000000038D0: D3F3006C 1DB2197C
	v_mfma_f32_16x16x32_fp8_fp8 v[108:111], a[126:127], a[14:15], v[108:111]// 0000000038D8: D3F3006C 1DB21D7E
	ds_read_b128 a[64:67], v2 offset:14976                     // 0000000038E0: DBFE3A80 40000002
	ds_read_b128 a[68:71], v2 offset:15040                     // 0000000038E8: DBFE3AC0 44000002
	v_mfma_f32_16x16x32_fp8_fp8 v[112:115], a[120:121], a[16:17], v[112:115]// 0000000038F0: D3F30070 1DC22178
	v_mfma_f32_16x16x32_fp8_fp8 v[112:115], a[122:123], a[18:19], v[112:115]// 0000000038F8: D3F30070 1DC2257A
	v_mfma_f32_16x16x32_fp8_fp8 v[112:115], a[124:125], a[20:21], v[112:115]// 000000003900: D3F30070 1DC2297C
	v_mfma_f32_16x16x32_fp8_fp8 v[112:115], a[126:127], a[22:23], v[112:115]// 000000003908: D3F30070 1DC22D7E
	ds_read_b128 a[72:75], v2 offset:15488                     // 000000003910: DBFE3C80 48000002
	ds_read_b128 a[76:79], v2 offset:15552                     // 000000003918: DBFE3CC0 4C000002
	v_mfma_f32_16x16x32_fp8_fp8 v[116:119], a[120:121], a[24:25], v[116:119]// 000000003920: D3F30074 1DD23178
	v_mfma_f32_16x16x32_fp8_fp8 v[116:119], a[122:123], a[26:27], v[116:119]// 000000003928: D3F30074 1DD2357A
	v_mfma_f32_16x16x32_fp8_fp8 v[116:119], a[124:125], a[28:29], v[116:119]// 000000003930: D3F30074 1DD2397C
	v_mfma_f32_16x16x32_fp8_fp8 v[116:119], a[126:127], a[30:31], v[116:119]// 000000003938: D3F30074 1DD23D7E
	ds_read_b128 a[80:83], v2 offset:16000                     // 000000003940: DBFE3E80 50000002
	ds_read_b128 a[84:87], v2 offset:16064                     // 000000003948: DBFE3EC0 54000002
	v_mfma_f32_16x16x32_fp8_fp8 v[120:123], a[120:121], a[32:33], v[120:123]// 000000003950: D3F30078 1DE24178
	v_mfma_f32_16x16x32_fp8_fp8 v[120:123], a[122:123], a[34:35], v[120:123]// 000000003958: D3F30078 1DE2457A
	v_mfma_f32_16x16x32_fp8_fp8 v[120:123], a[124:125], a[36:37], v[120:123]// 000000003960: D3F30078 1DE2497C
	v_mfma_f32_16x16x32_fp8_fp8 v[120:123], a[126:127], a[38:39], v[120:123]// 000000003968: D3F30078 1DE24D7E
	ds_read_b128 a[88:91], v2 offset:16512                     // 000000003970: DBFE4080 58000002
	ds_read_b128 a[92:95], v2 offset:16576                     // 000000003978: DBFE40C0 5C000002
	v_mfma_f32_16x16x32_fp8_fp8 v[124:127], a[120:121], a[40:41], v[124:127]// 000000003980: D3F3007C 1DF25178
	s_add_u32 s60, 0x180, s80                                  // 000000003988: 803C50FF 00000180
	s_cmp_lt_u32 s60, s81                                      // 000000003990: BF0A513C
	s_cselect_b32 s57, s57, 0                                  // 000000003994: 85398039
	v_mfma_f32_16x16x32_fp8_fp8 v[124:127], a[122:123], a[42:43], v[124:127]// 000000003998: D3F3007C 1DF2557A
	s_add_u32 s60, 0x100, s80                                  // 0000000039A0: 803C50FF 00000100
	s_cmp_lt_u32 s60, s81                                      // 0000000039A8: BF0A513C
	s_cselect_b32 s58, s58, 0                                  // 0000000039AC: 853A803A
	v_mfma_f32_16x16x32_fp8_fp8 v[124:127], a[124:125], a[44:45], v[124:127]// 0000000039B0: D3F3007C 1DF2597C
	s_add_u32 s60, 0x100, s80                                  // 0000000039B8: 803C50FF 00000100
	s_cmp_lt_u32 s60, s81                                      // 0000000039C0: BF0A513C
	s_cselect_b32 s83, s83, 0                                  // 0000000039C4: 85538053
	v_mfma_f32_16x16x32_fp8_fp8 v[124:127], a[126:127], a[46:47], v[124:127]// 0000000039C8: D3F3007C 1DF25D7E
	ds_read_b128 a[96:99], v2 offset:17024                     // 0000000039D0: DBFE4280 60000002
	ds_read_b128 a[100:103], v2 offset:17088                   // 0000000039D8: DBFE42C0 64000002
	s_add_u32 s24, s58, s24                                    // 0000000039E0: 8018183A
	s_addc_u32 s25, 0, s25                                     // 0000000039E4: 82191980
	v_mfma_f32_16x16x32_fp8_fp8 v[128:131], a[120:121], a[48:49], v[128:131]// 0000000039E8: D3F30080 1E026178
	s_add_u32 s20, s57, s20                                    // 0000000039F0: 80141439
	s_addc_u32 s21, 0, s21                                     // 0000000039F4: 82151580
	v_mfma_f32_16x16x32_fp8_fp8 v[128:131], a[122:123], a[50:51], v[128:131]// 0000000039F8: D3F30080 1E02657A
	s_add_u32 s84, s83, s84                                    // 000000003A00: 80545453
	s_addc_u32 s85, 0, s85                                     // 000000003A04: 82555580
	v_mfma_f32_16x16x32_fp8_fp8 v[128:131], a[124:125], a[52:53], v[128:131]// 000000003A08: D3F30080 1E02697C
	v_mfma_f32_16x16x32_fp8_fp8 v[128:131], a[126:127], a[54:55], v[128:131]// 000000003A10: D3F30080 1E026D7E
	ds_read_b128 a[104:107], v2 offset:17536                   // 000000003A18: DBFE4480 68000002
	ds_read_b128 a[108:111], v2 offset:17600                   // 000000003A20: DBFE44C0 6C000002
	s_addk_i32 s80, 0x80                                       // 000000003A28: B7500080
	s_cmp_lt_i32 s80, s81                                      // 000000003A2C: BF045150
	s_cbranch_scc0 label_087D                                  // 000000003A30: BF840470
	s_waitcnt vmcnt(16) lgkmcnt(0)                             // 000000003A34: BF8C4070
	v_mfma_f32_16x16x32_fp8_fp8 v[76:79], a[128:129], a[56:57], v[76:79]// 000000003A38: D3F3004C 1D327180
	v_mfma_f32_16x16x32_fp8_fp8 v[76:79], a[130:131], a[58:59], v[76:79]// 000000003A40: D3F3004C 1D327582
	buffer_load_dwordx4 a[120:123], v72, s[24:27], 0 offen     // 000000003A48: E05C1000 80867848
	v_mfma_f32_16x16x32_fp8_fp8 v[76:79], a[132:133], a[60:61], v[76:79]// 000000003A50: D3F3004C 1D327984
	v_mfma_f32_16x16x32_fp8_fp8 v[76:79], a[134:135], a[62:63], v[76:79]// 000000003A58: D3F3004C 1D327D86
	v_mfma_f32_16x16x32_fp8_fp8 v[80:83], a[128:129], a[64:65], v[80:83]// 000000003A60: D3F30050 1D428180
	v_mfma_f32_16x16x32_fp8_fp8 v[80:83], a[130:131], a[66:67], v[80:83]// 000000003A68: D3F30050 1D428582
	buffer_load_dwordx4 a[124:127], v72, s[24:27], 0 offen offset:1024// 000000003A70: E05C1400 80867C48
	buffer_load_dword v58, s[20:23], 0 offen lds               // 000000003A78: E0511000 8005003A
	s_add_u32 m0, 0x100, s48                                   // 000000003A80: 807C30FF 00000100
	v_mfma_f32_16x16x32_fp8_fp8 v[80:83], a[132:133], a[68:69], v[80:83]// 000000003A88: D3F30050 1D428984
	v_mfma_f32_16x16x32_fp8_fp8 v[80:83], a[134:135], a[70:71], v[80:83]// 000000003A90: D3F30050 1D428D86
	buffer_load_dword v59, s[20:23], 0 offen lds               // 000000003A98: E0511000 8005003B
	s_add_u32 m0, 0x200, s48                                   // 000000003AA0: 807C30FF 00000200
	v_mfma_f32_16x16x32_fp8_fp8 v[84:87], a[128:129], a[72:73], v[84:87]// 000000003AA8: D3F30054 1D529180
	v_mfma_f32_16x16x32_fp8_fp8 v[84:87], a[130:131], a[74:75], v[84:87]// 000000003AB0: D3F30054 1D529582
	buffer_load_dword v60, s[20:23], 0 offen lds               // 000000003AB8: E0511000 8005003C
	s_add_u32 m0, 0x300, s48                                   // 000000003AC0: 807C30FF 00000300
	v_mfma_f32_16x16x32_fp8_fp8 v[84:87], a[132:133], a[76:77], v[84:87]// 000000003AC8: D3F30054 1D529984
	v_mfma_f32_16x16x32_fp8_fp8 v[84:87], a[134:135], a[78:79], v[84:87]// 000000003AD0: D3F30054 1D529D86
	buffer_load_dword v61, s[20:23], 0 offen lds               // 000000003AD8: E0511000 8005003D
	s_add_u32 m0, 0x400, s48                                   // 000000003AE0: 807C30FF 00000400
	v_mfma_f32_16x16x32_fp8_fp8 v[88:91], a[128:129], a[80:81], v[88:91]// 000000003AE8: D3F30058 1D62A180
	v_mfma_f32_16x16x32_fp8_fp8 v[88:91], a[130:131], a[82:83], v[88:91]// 000000003AF0: D3F30058 1D62A582
	buffer_load_dword v62, s[20:23], 0 offen lds               // 000000003AF8: E0511000 8005003E
	s_add_u32 m0, 0x500, s48                                   // 000000003B00: 807C30FF 00000500
	v_mfma_f32_16x16x32_fp8_fp8 v[88:91], a[132:133], a[84:85], v[88:91]// 000000003B08: D3F30058 1D62A984
	v_mfma_f32_16x16x32_fp8_fp8 v[88:91], a[134:135], a[86:87], v[88:91]// 000000003B10: D3F30058 1D62AD86
	buffer_load_dword v63, s[20:23], 0 offen lds               // 000000003B18: E0511000 8005003F
	s_add_u32 m0, 0x600, s48                                   // 000000003B20: 807C30FF 00000600
	v_mfma_f32_16x16x32_fp8_fp8 v[92:95], a[128:129], a[88:89], v[92:95]// 000000003B28: D3F3005C 1D72B180
	v_mfma_f32_16x16x32_fp8_fp8 v[92:95], a[130:131], a[90:91], v[92:95]// 000000003B30: D3F3005C 1D72B582
	buffer_load_dword v64, s[20:23], 0 offen lds               // 000000003B38: E0511000 80050040
	s_add_u32 m0, 0x700, s48                                   // 000000003B40: 807C30FF 00000700
	v_mfma_f32_16x16x32_fp8_fp8 v[92:95], a[132:133], a[92:93], v[92:95]// 000000003B48: D3F3005C 1D72B984
	v_mfma_f32_16x16x32_fp8_fp8 v[92:95], a[134:135], a[94:95], v[92:95]// 000000003B50: D3F3005C 1D72BD86
	buffer_load_dword v65, s[20:23], 0 offen lds               // 000000003B58: E0511000 80050041
	s_add_u32 m0, 0x800, s48                                   // 000000003B60: 807C30FF 00000800
	v_mfma_f32_16x16x32_fp8_fp8 v[96:99], a[128:129], a[96:97], v[96:99]// 000000003B68: D3F30060 1D82C180
	v_mfma_f32_16x16x32_fp8_fp8 v[96:99], a[130:131], a[98:99], v[96:99]// 000000003B70: D3F30060 1D82C582
	buffer_load_dword v66, s[20:23], 0 offen lds               // 000000003B78: E0511000 80050042
	s_add_u32 m0, 0x900, s48                                   // 000000003B80: 807C30FF 00000900
	v_mfma_f32_16x16x32_fp8_fp8 v[96:99], a[132:133], a[100:101], v[96:99]// 000000003B88: D3F30060 1D82C984
	v_mfma_f32_16x16x32_fp8_fp8 v[96:99], a[134:135], a[102:103], v[96:99]// 000000003B90: D3F30060 1D82CD86
	buffer_load_dword v67, s[20:23], 0 offen lds               // 000000003B98: E0511000 80050043
	s_add_u32 m0, 0xa00, s48                                   // 000000003BA0: 807C30FF 00000A00
	v_mfma_f32_16x16x32_fp8_fp8 v[100:103], a[128:129], a[104:105], v[100:103]// 000000003BA8: D3F30064 1D92D180
	v_mfma_f32_16x16x32_fp8_fp8 v[100:103], a[130:131], a[106:107], v[100:103]// 000000003BB0: D3F30064 1D92D582
	buffer_load_dword v68, s[20:23], 0 offen lds               // 000000003BB8: E0511000 80050044
	s_add_u32 m0, 0xb00, s48                                   // 000000003BC0: 807C30FF 00000B00
	v_mfma_f32_16x16x32_fp8_fp8 v[100:103], a[132:133], a[108:109], v[100:103]// 000000003BC8: D3F30064 1D92D984
	v_mfma_f32_16x16x32_fp8_fp8 v[100:103], a[134:135], a[110:111], v[100:103]// 000000003BD0: D3F30064 1D92DD86
	buffer_load_dword v69, s[20:23], 0 offen lds               // 000000003BD8: E0511000 80050045
	s_add_u32 m0, 0xc00, s48                                   // 000000003BE0: 807C30FF 00000C00
	buffer_load_dword v70, s[20:23], 0 offen lds               // 000000003BE8: E0511000 80050046
	s_add_u32 m0, 0xd00, s48                                   // 000000003BF0: 807C30FF 00000D00
	buffer_load_dword v71, s[20:23], 0 offen lds               // 000000003BF8: E0511000 80050047
	s_add_u32 m0, 0, s49                                       // 000000003C00: 807C3180
	s_waitcnt vmcnt(16)                                        // 000000003C04: BF8C4F70
	s_barrier                                                  // 000000003C08: BF8A0000
	v_mfma_f32_16x16x32_fp8_fp8 v[104:107], a[112:113], a[56:57], v[104:107]// 000000003C0C: D3F30068 1DA27170
	v_mfma_f32_16x16x32_fp8_fp8 v[104:107], a[114:115], a[58:59], v[104:107]// 000000003C14: D3F30068 1DA27572
	buffer_load_dwordx4 a[128:131], v72, s[84:87], 0 offen     // 000000003C1C: E05C1000 80958048
	v_mfma_f32_16x16x32_fp8_fp8 v[104:107], a[116:117], a[60:61], v[104:107]// 000000003C24: D3F30068 1DA27974
	v_mfma_f32_16x16x32_fp8_fp8 v[104:107], a[118:119], a[62:63], v[104:107]// 000000003C2C: D3F30068 1DA27D76
	ds_read_b128 a[0:3], v2 offset:28928                       // 000000003C34: DBFE7100 00000002
	ds_read_b128 a[4:7], v2 offset:28992                       // 000000003C3C: DBFE7140 04000002
	v_mfma_f32_16x16x32_fp8_fp8 v[108:111], a[112:113], a[64:65], v[108:111]// 000000003C44: D3F3006C 1DB28170
	v_mfma_f32_16x16x32_fp8_fp8 v[108:111], a[114:115], a[66:67], v[108:111]// 000000003C4C: D3F3006C 1DB28572
	buffer_load_dwordx4 a[132:135], v72, s[84:87], 0 offen offset:1024// 000000003C54: E05C1400 80958448
	v_mfma_f32_16x16x32_fp8_fp8 v[108:111], a[116:117], a[68:69], v[108:111]// 000000003C5C: D3F3006C 1DB28974
	v_mfma_f32_16x16x32_fp8_fp8 v[108:111], a[118:119], a[70:71], v[108:111]// 000000003C64: D3F3006C 1DB28D76
	ds_read_b128 a[8:11], v2 offset:29440                      // 000000003C6C: DBFE7300 08000002
	ds_read_b128 a[12:15], v2 offset:29504                     // 000000003C74: DBFE7340 0C000002
	v_mfma_f32_16x16x32_fp8_fp8 v[112:115], a[112:113], a[72:73], v[112:115]// 000000003C7C: D3F30070 1DC29170
	v_mfma_f32_16x16x32_fp8_fp8 v[112:115], a[114:115], a[74:75], v[112:115]// 000000003C84: D3F30070 1DC29572
	v_mfma_f32_16x16x32_fp8_fp8 v[112:115], a[116:117], a[76:77], v[112:115]// 000000003C8C: D3F30070 1DC29974
	v_mfma_f32_16x16x32_fp8_fp8 v[112:115], a[118:119], a[78:79], v[112:115]// 000000003C94: D3F30070 1DC29D76
	ds_read_b128 a[16:19], v2 offset:29952                     // 000000003C9C: DBFE7500 10000002
	ds_read_b128 a[20:23], v2 offset:30016                     // 000000003CA4: DBFE7540 14000002
	v_mfma_f32_16x16x32_fp8_fp8 v[116:119], a[112:113], a[80:81], v[116:119]// 000000003CAC: D3F30074 1DD2A170
	v_mfma_f32_16x16x32_fp8_fp8 v[116:119], a[114:115], a[82:83], v[116:119]// 000000003CB4: D3F30074 1DD2A572
	v_mfma_f32_16x16x32_fp8_fp8 v[116:119], a[116:117], a[84:85], v[116:119]// 000000003CBC: D3F30074 1DD2A974
	v_mfma_f32_16x16x32_fp8_fp8 v[116:119], a[118:119], a[86:87], v[116:119]// 000000003CC4: D3F30074 1DD2AD76
	ds_read_b128 a[24:27], v2 offset:30464                     // 000000003CCC: DBFE7700 18000002
	ds_read_b128 a[28:31], v2 offset:30528                     // 000000003CD4: DBFE7740 1C000002
	v_mfma_f32_16x16x32_fp8_fp8 v[120:123], a[112:113], a[88:89], v[120:123]// 000000003CDC: D3F30078 1DE2B170
	v_mfma_f32_16x16x32_fp8_fp8 v[120:123], a[114:115], a[90:91], v[120:123]// 000000003CE4: D3F30078 1DE2B572
	v_mfma_f32_16x16x32_fp8_fp8 v[120:123], a[116:117], a[92:93], v[120:123]// 000000003CEC: D3F30078 1DE2B974
	v_mfma_f32_16x16x32_fp8_fp8 v[120:123], a[118:119], a[94:95], v[120:123]// 000000003CF4: D3F30078 1DE2BD76
	ds_read_b128 a[32:35], v2 offset:30976                     // 000000003CFC: DBFE7900 20000002
	ds_read_b128 a[36:39], v2 offset:31040                     // 000000003D04: DBFE7940 24000002
	v_mfma_f32_16x16x32_fp8_fp8 v[124:127], a[112:113], a[96:97], v[124:127]// 000000003D0C: D3F3007C 1DF2C170
	s_add_u32 s60, 0x180, s80                                  // 000000003D14: 803C50FF 00000180
	s_cmp_lt_u32 s60, s81                                      // 000000003D1C: BF0A513C
	s_cselect_b32 s57, s57, 0                                  // 000000003D20: 85398039
	v_mfma_f32_16x16x32_fp8_fp8 v[124:127], a[114:115], a[98:99], v[124:127]// 000000003D24: D3F3007C 1DF2C572
	s_add_u32 s60, 0x100, s80                                  // 000000003D2C: 803C50FF 00000100
	s_cmp_lt_u32 s60, s81                                      // 000000003D34: BF0A513C
	s_cselect_b32 s58, s58, 0                                  // 000000003D38: 853A803A
	v_mfma_f32_16x16x32_fp8_fp8 v[124:127], a[116:117], a[100:101], v[124:127]// 000000003D3C: D3F3007C 1DF2C974
	s_add_u32 s60, 0x100, s80                                  // 000000003D44: 803C50FF 00000100
	s_cmp_lt_u32 s60, s81                                      // 000000003D4C: BF0A513C
	s_cselect_b32 s83, s83, 0                                  // 000000003D50: 85538053
	v_mfma_f32_16x16x32_fp8_fp8 v[124:127], a[118:119], a[102:103], v[124:127]// 000000003D54: D3F3007C 1DF2CD76
	ds_read_b128 a[40:43], v2 offset:31488                     // 000000003D5C: DBFE7B00 28000002
	ds_read_b128 a[44:47], v2 offset:31552                     // 000000003D64: DBFE7B40 2C000002
	s_add_u32 s24, s58, s24                                    // 000000003D6C: 8018183A
	s_addc_u32 s25, 0, s25                                     // 000000003D70: 82191980
	v_mfma_f32_16x16x32_fp8_fp8 v[128:131], a[112:113], a[104:105], v[128:131]// 000000003D74: D3F30080 1E02D170
	s_add_u32 s20, s57, s20                                    // 000000003D7C: 80141439
	s_addc_u32 s21, 0, s21                                     // 000000003D80: 82151580
	v_mfma_f32_16x16x32_fp8_fp8 v[128:131], a[114:115], a[106:107], v[128:131]// 000000003D84: D3F30080 1E02D572
	s_add_u32 s84, s83, s84                                    // 000000003D8C: 80545453
	s_addc_u32 s85, 0, s85                                     // 000000003D90: 82555580
	v_mfma_f32_16x16x32_fp8_fp8 v[128:131], a[116:117], a[108:109], v[128:131]// 000000003D94: D3F30080 1E02D974
	v_mfma_f32_16x16x32_fp8_fp8 v[128:131], a[118:119], a[110:111], v[128:131]// 000000003D9C: D3F30080 1E02DD76
	ds_read_b128 a[48:51], v2 offset:32000                     // 000000003DA4: DBFE7D00 30000002
	ds_read_b128 a[52:55], v2 offset:32064                     // 000000003DAC: DBFE7D40 34000002
	s_addk_i32 s80, 0x80                                       // 000000003DB4: B7500080
	s_cmp_lt_i32 s80, s81                                      // 000000003DB8: BF045150
	s_cbranch_scc0 label_087D                                  // 000000003DBC: BF84038D
	s_waitcnt vmcnt(16) lgkmcnt(0)                             // 000000003DC0: BF8C4070
	v_mfma_f32_16x16x32_fp8_fp8 v[76:79], a[120:121], a[0:1], v[76:79]// 000000003DC4: D3F3004C 1D320178
	v_mfma_f32_16x16x32_fp8_fp8 v[76:79], a[122:123], a[2:3], v[76:79]// 000000003DCC: D3F3004C 1D32057A
	buffer_load_dwordx4 a[112:115], v72, s[24:27], 0 offen     // 000000003DD4: E05C1000 80867048
	v_mfma_f32_16x16x32_fp8_fp8 v[76:79], a[124:125], a[4:5], v[76:79]// 000000003DDC: D3F3004C 1D32097C
	v_mfma_f32_16x16x32_fp8_fp8 v[76:79], a[126:127], a[6:7], v[76:79]// 000000003DE4: D3F3004C 1D320D7E
	v_mfma_f32_16x16x32_fp8_fp8 v[80:83], a[120:121], a[8:9], v[80:83]// 000000003DEC: D3F30050 1D421178
	v_mfma_f32_16x16x32_fp8_fp8 v[80:83], a[122:123], a[10:11], v[80:83]// 000000003DF4: D3F30050 1D42157A
	buffer_load_dwordx4 a[116:119], v72, s[24:27], 0 offen offset:1024// 000000003DFC: E05C1400 80867448
	buffer_load_dword v58, s[20:23], 0 offen lds               // 000000003E04: E0511000 8005003A
	s_add_u32 m0, 0x100, s49                                   // 000000003E0C: 807C31FF 00000100
	v_mfma_f32_16x16x32_fp8_fp8 v[80:83], a[124:125], a[12:13], v[80:83]// 000000003E14: D3F30050 1D42197C
	v_mfma_f32_16x16x32_fp8_fp8 v[80:83], a[126:127], a[14:15], v[80:83]// 000000003E1C: D3F30050 1D421D7E
	buffer_load_dword v59, s[20:23], 0 offen lds               // 000000003E24: E0511000 8005003B
	s_add_u32 m0, 0x200, s49                                   // 000000003E2C: 807C31FF 00000200
	v_mfma_f32_16x16x32_fp8_fp8 v[84:87], a[120:121], a[16:17], v[84:87]// 000000003E34: D3F30054 1D522178
	v_mfma_f32_16x16x32_fp8_fp8 v[84:87], a[122:123], a[18:19], v[84:87]// 000000003E3C: D3F30054 1D52257A
	buffer_load_dword v60, s[20:23], 0 offen lds               // 000000003E44: E0511000 8005003C
	s_add_u32 m0, 0x300, s49                                   // 000000003E4C: 807C31FF 00000300
	v_mfma_f32_16x16x32_fp8_fp8 v[84:87], a[124:125], a[20:21], v[84:87]// 000000003E54: D3F30054 1D52297C
	v_mfma_f32_16x16x32_fp8_fp8 v[84:87], a[126:127], a[22:23], v[84:87]// 000000003E5C: D3F30054 1D522D7E
	buffer_load_dword v61, s[20:23], 0 offen lds               // 000000003E64: E0511000 8005003D
	s_add_u32 m0, 0x400, s49                                   // 000000003E6C: 807C31FF 00000400
	v_mfma_f32_16x16x32_fp8_fp8 v[88:91], a[120:121], a[24:25], v[88:91]// 000000003E74: D3F30058 1D623178
	v_mfma_f32_16x16x32_fp8_fp8 v[88:91], a[122:123], a[26:27], v[88:91]// 000000003E7C: D3F30058 1D62357A
	buffer_load_dword v62, s[20:23], 0 offen lds               // 000000003E84: E0511000 8005003E
	s_add_u32 m0, 0x500, s49                                   // 000000003E8C: 807C31FF 00000500
	v_mfma_f32_16x16x32_fp8_fp8 v[88:91], a[124:125], a[28:29], v[88:91]// 000000003E94: D3F30058 1D62397C
	v_mfma_f32_16x16x32_fp8_fp8 v[88:91], a[126:127], a[30:31], v[88:91]// 000000003E9C: D3F30058 1D623D7E
	buffer_load_dword v63, s[20:23], 0 offen lds               // 000000003EA4: E0511000 8005003F
	s_add_u32 m0, 0x600, s49                                   // 000000003EAC: 807C31FF 00000600
	v_mfma_f32_16x16x32_fp8_fp8 v[92:95], a[120:121], a[32:33], v[92:95]// 000000003EB4: D3F3005C 1D724178
	v_mfma_f32_16x16x32_fp8_fp8 v[92:95], a[122:123], a[34:35], v[92:95]// 000000003EBC: D3F3005C 1D72457A
	buffer_load_dword v64, s[20:23], 0 offen lds               // 000000003EC4: E0511000 80050040
	s_add_u32 m0, 0x700, s49                                   // 000000003ECC: 807C31FF 00000700
	v_mfma_f32_16x16x32_fp8_fp8 v[92:95], a[124:125], a[36:37], v[92:95]// 000000003ED4: D3F3005C 1D72497C
	v_mfma_f32_16x16x32_fp8_fp8 v[92:95], a[126:127], a[38:39], v[92:95]// 000000003EDC: D3F3005C 1D724D7E
	buffer_load_dword v65, s[20:23], 0 offen lds               // 000000003EE4: E0511000 80050041
	s_add_u32 m0, 0x800, s49                                   // 000000003EEC: 807C31FF 00000800
	v_mfma_f32_16x16x32_fp8_fp8 v[96:99], a[120:121], a[40:41], v[96:99]// 000000003EF4: D3F30060 1D825178
	v_mfma_f32_16x16x32_fp8_fp8 v[96:99], a[122:123], a[42:43], v[96:99]// 000000003EFC: D3F30060 1D82557A
	buffer_load_dword v66, s[20:23], 0 offen lds               // 000000003F04: E0511000 80050042
	s_add_u32 m0, 0x900, s49                                   // 000000003F0C: 807C31FF 00000900
	v_mfma_f32_16x16x32_fp8_fp8 v[96:99], a[124:125], a[44:45], v[96:99]// 000000003F14: D3F30060 1D82597C
	v_mfma_f32_16x16x32_fp8_fp8 v[96:99], a[126:127], a[46:47], v[96:99]// 000000003F1C: D3F30060 1D825D7E
	buffer_load_dword v67, s[20:23], 0 offen lds               // 000000003F24: E0511000 80050043
	s_add_u32 m0, 0xa00, s49                                   // 000000003F2C: 807C31FF 00000A00
	v_mfma_f32_16x16x32_fp8_fp8 v[100:103], a[120:121], a[48:49], v[100:103]// 000000003F34: D3F30064 1D926178
	v_mfma_f32_16x16x32_fp8_fp8 v[100:103], a[122:123], a[50:51], v[100:103]// 000000003F3C: D3F30064 1D92657A
	buffer_load_dword v68, s[20:23], 0 offen lds               // 000000003F44: E0511000 80050044
	s_add_u32 m0, 0xb00, s49                                   // 000000003F4C: 807C31FF 00000B00
	v_mfma_f32_16x16x32_fp8_fp8 v[100:103], a[124:125], a[52:53], v[100:103]// 000000003F54: D3F30064 1D92697C
	v_mfma_f32_16x16x32_fp8_fp8 v[100:103], a[126:127], a[54:55], v[100:103]// 000000003F5C: D3F30064 1D926D7E
	buffer_load_dword v69, s[20:23], 0 offen lds               // 000000003F64: E0511000 80050045
	s_add_u32 m0, 0xc00, s49                                   // 000000003F6C: 807C31FF 00000C00
	buffer_load_dword v70, s[20:23], 0 offen lds               // 000000003F74: E0511000 80050046
	s_add_u32 m0, 0xd00, s49                                   // 000000003F7C: 807C31FF 00000D00
	buffer_load_dword v71, s[20:23], 0 offen lds               // 000000003F84: E0511000 80050047
	s_add_u32 m0, 0, s50                                       // 000000003F8C: 807C3280
	s_waitcnt vmcnt(16)                                        // 000000003F90: BF8C4F70
	s_barrier                                                  // 000000003F94: BF8A0000
	v_mfma_f32_16x16x32_fp8_fp8 v[104:107], a[128:129], a[0:1], v[104:107]// 000000003F98: D3F30068 1DA20180
	v_mfma_f32_16x16x32_fp8_fp8 v[104:107], a[130:131], a[2:3], v[104:107]// 000000003FA0: D3F30068 1DA20582
	buffer_load_dwordx4 a[120:123], v72, s[84:87], 0 offen     // 000000003FA8: E05C1000 80957848
	v_mfma_f32_16x16x32_fp8_fp8 v[104:107], a[132:133], a[4:5], v[104:107]// 000000003FB0: D3F30068 1DA20984
	v_mfma_f32_16x16x32_fp8_fp8 v[104:107], a[134:135], a[6:7], v[104:107]// 000000003FB8: D3F30068 1DA20D86
	ds_read_b128 a[56:59], v2                                  // 000000003FC0: DBFE0000 38000002
	ds_read_b128 a[60:63], v2 offset:64                        // 000000003FC8: DBFE0040 3C000002
	v_mfma_f32_16x16x32_fp8_fp8 v[108:111], a[128:129], a[8:9], v[108:111]// 000000003FD0: D3F3006C 1DB21180
	v_mfma_f32_16x16x32_fp8_fp8 v[108:111], a[130:131], a[10:11], v[108:111]// 000000003FD8: D3F3006C 1DB21582
	buffer_load_dwordx4 a[124:127], v72, s[84:87], 0 offen offset:1024// 000000003FE0: E05C1400 80957C48
	v_mfma_f32_16x16x32_fp8_fp8 v[108:111], a[132:133], a[12:13], v[108:111]// 000000003FE8: D3F3006C 1DB21984
	v_mfma_f32_16x16x32_fp8_fp8 v[108:111], a[134:135], a[14:15], v[108:111]// 000000003FF0: D3F3006C 1DB21D86
	ds_read_b128 a[64:67], v2 offset:512                       // 000000003FF8: DBFE0200 40000002
	ds_read_b128 a[68:71], v2 offset:576                       // 000000004000: DBFE0240 44000002
	v_mfma_f32_16x16x32_fp8_fp8 v[112:115], a[128:129], a[16:17], v[112:115]// 000000004008: D3F30070 1DC22180
	v_mfma_f32_16x16x32_fp8_fp8 v[112:115], a[130:131], a[18:19], v[112:115]// 000000004010: D3F30070 1DC22582
	v_mfma_f32_16x16x32_fp8_fp8 v[112:115], a[132:133], a[20:21], v[112:115]// 000000004018: D3F30070 1DC22984
	v_mfma_f32_16x16x32_fp8_fp8 v[112:115], a[134:135], a[22:23], v[112:115]// 000000004020: D3F30070 1DC22D86
	ds_read_b128 a[72:75], v2 offset:1024                      // 000000004028: DBFE0400 48000002
	ds_read_b128 a[76:79], v2 offset:1088                      // 000000004030: DBFE0440 4C000002
	v_mfma_f32_16x16x32_fp8_fp8 v[116:119], a[128:129], a[24:25], v[116:119]// 000000004038: D3F30074 1DD23180
	v_mfma_f32_16x16x32_fp8_fp8 v[116:119], a[130:131], a[26:27], v[116:119]// 000000004040: D3F30074 1DD23582
	v_mfma_f32_16x16x32_fp8_fp8 v[116:119], a[132:133], a[28:29], v[116:119]// 000000004048: D3F30074 1DD23984
	v_mfma_f32_16x16x32_fp8_fp8 v[116:119], a[134:135], a[30:31], v[116:119]// 000000004050: D3F30074 1DD23D86
	ds_read_b128 a[80:83], v2 offset:1536                      // 000000004058: DBFE0600 50000002
	ds_read_b128 a[84:87], v2 offset:1600                      // 000000004060: DBFE0640 54000002
	v_mfma_f32_16x16x32_fp8_fp8 v[120:123], a[128:129], a[32:33], v[120:123]// 000000004068: D3F30078 1DE24180
	v_mfma_f32_16x16x32_fp8_fp8 v[120:123], a[130:131], a[34:35], v[120:123]// 000000004070: D3F30078 1DE24582
	v_mfma_f32_16x16x32_fp8_fp8 v[120:123], a[132:133], a[36:37], v[120:123]// 000000004078: D3F30078 1DE24984
	v_mfma_f32_16x16x32_fp8_fp8 v[120:123], a[134:135], a[38:39], v[120:123]// 000000004080: D3F30078 1DE24D86
	ds_read_b128 a[88:91], v2 offset:2048                      // 000000004088: DBFE0800 58000002
	ds_read_b128 a[92:95], v2 offset:2112                      // 000000004090: DBFE0840 5C000002
	v_mfma_f32_16x16x32_fp8_fp8 v[124:127], a[128:129], a[40:41], v[124:127]// 000000004098: D3F3007C 1DF25180
	s_add_u32 s60, 0x180, s80                                  // 0000000040A0: 803C50FF 00000180
	s_cmp_lt_u32 s60, s81                                      // 0000000040A8: BF0A513C
	s_cselect_b32 s57, s57, 0                                  // 0000000040AC: 85398039
	v_mfma_f32_16x16x32_fp8_fp8 v[124:127], a[130:131], a[42:43], v[124:127]// 0000000040B0: D3F3007C 1DF25582
	s_add_u32 s60, 0x100, s80                                  // 0000000040B8: 803C50FF 00000100
	s_cmp_lt_u32 s60, s81                                      // 0000000040C0: BF0A513C
	s_cselect_b32 s58, s58, 0                                  // 0000000040C4: 853A803A
	v_mfma_f32_16x16x32_fp8_fp8 v[124:127], a[132:133], a[44:45], v[124:127]// 0000000040C8: D3F3007C 1DF25984
	s_add_u32 s60, 0x100, s80                                  // 0000000040D0: 803C50FF 00000100
	s_cmp_lt_u32 s60, s81                                      // 0000000040D8: BF0A513C
	s_cselect_b32 s83, s83, 0                                  // 0000000040DC: 85538053
	v_mfma_f32_16x16x32_fp8_fp8 v[124:127], a[134:135], a[46:47], v[124:127]// 0000000040E0: D3F3007C 1DF25D86
	ds_read_b128 a[96:99], v2 offset:2560                      // 0000000040E8: DBFE0A00 60000002
	ds_read_b128 a[100:103], v2 offset:2624                    // 0000000040F0: DBFE0A40 64000002
	s_add_u32 s24, s58, s24                                    // 0000000040F8: 8018183A
	s_addc_u32 s25, 0, s25                                     // 0000000040FC: 82191980
	v_mfma_f32_16x16x32_fp8_fp8 v[128:131], a[128:129], a[48:49], v[128:131]// 000000004100: D3F30080 1E026180
	s_add_u32 s20, s57, s20                                    // 000000004108: 80141439
	s_addc_u32 s21, 0, s21                                     // 00000000410C: 82151580
	v_mfma_f32_16x16x32_fp8_fp8 v[128:131], a[130:131], a[50:51], v[128:131]// 000000004110: D3F30080 1E026582
	s_add_u32 s84, s83, s84                                    // 000000004118: 80545453
	s_addc_u32 s85, 0, s85                                     // 00000000411C: 82555580
	v_mfma_f32_16x16x32_fp8_fp8 v[128:131], a[132:133], a[52:53], v[128:131]// 000000004120: D3F30080 1E026984
	v_mfma_f32_16x16x32_fp8_fp8 v[128:131], a[134:135], a[54:55], v[128:131]// 000000004128: D3F30080 1E026D86
	ds_read_b128 a[104:107], v2 offset:3072                    // 000000004130: DBFE0C00 68000002
	ds_read_b128 a[108:111], v2 offset:3136                    // 000000004138: DBFE0C40 6C000002
	s_addk_i32 s80, 0x80                                       // 000000004140: B7500080
	s_cmp_lt_i32 s80, s81                                      // 000000004144: BF045150
	s_cbranch_scc0 label_087D                                  // 000000004148: BF8402AA
	s_waitcnt vmcnt(16) lgkmcnt(0)                             // 00000000414C: BF8C4070
	v_mfma_f32_16x16x32_fp8_fp8 v[76:79], a[112:113], a[56:57], v[76:79]// 000000004150: D3F3004C 1D327170
	v_mfma_f32_16x16x32_fp8_fp8 v[76:79], a[114:115], a[58:59], v[76:79]// 000000004158: D3F3004C 1D327572
	buffer_load_dwordx4 a[128:131], v72, s[24:27], 0 offen     // 000000004160: E05C1000 80868048
	v_mfma_f32_16x16x32_fp8_fp8 v[76:79], a[116:117], a[60:61], v[76:79]// 000000004168: D3F3004C 1D327974
	v_mfma_f32_16x16x32_fp8_fp8 v[76:79], a[118:119], a[62:63], v[76:79]// 000000004170: D3F3004C 1D327D76
	v_mfma_f32_16x16x32_fp8_fp8 v[80:83], a[112:113], a[64:65], v[80:83]// 000000004178: D3F30050 1D428170
	v_mfma_f32_16x16x32_fp8_fp8 v[80:83], a[114:115], a[66:67], v[80:83]// 000000004180: D3F30050 1D428572
	buffer_load_dwordx4 a[132:135], v72, s[24:27], 0 offen offset:1024// 000000004188: E05C1400 80868448
	buffer_load_dword v58, s[20:23], 0 offen lds               // 000000004190: E0511000 8005003A
	s_add_u32 m0, 0x100, s50                                   // 000000004198: 807C32FF 00000100
	v_mfma_f32_16x16x32_fp8_fp8 v[80:83], a[116:117], a[68:69], v[80:83]// 0000000041A0: D3F30050 1D428974
	v_mfma_f32_16x16x32_fp8_fp8 v[80:83], a[118:119], a[70:71], v[80:83]// 0000000041A8: D3F30050 1D428D76
	buffer_load_dword v59, s[20:23], 0 offen lds               // 0000000041B0: E0511000 8005003B
	s_add_u32 m0, 0x200, s50                                   // 0000000041B8: 807C32FF 00000200
	v_mfma_f32_16x16x32_fp8_fp8 v[84:87], a[112:113], a[72:73], v[84:87]// 0000000041C0: D3F30054 1D529170
	v_mfma_f32_16x16x32_fp8_fp8 v[84:87], a[114:115], a[74:75], v[84:87]// 0000000041C8: D3F30054 1D529572
	buffer_load_dword v60, s[20:23], 0 offen lds               // 0000000041D0: E0511000 8005003C
	s_add_u32 m0, 0x300, s50                                   // 0000000041D8: 807C32FF 00000300
	v_mfma_f32_16x16x32_fp8_fp8 v[84:87], a[116:117], a[76:77], v[84:87]// 0000000041E0: D3F30054 1D529974
	v_mfma_f32_16x16x32_fp8_fp8 v[84:87], a[118:119], a[78:79], v[84:87]// 0000000041E8: D3F30054 1D529D76
	buffer_load_dword v61, s[20:23], 0 offen lds               // 0000000041F0: E0511000 8005003D
	s_add_u32 m0, 0x400, s50                                   // 0000000041F8: 807C32FF 00000400
	v_mfma_f32_16x16x32_fp8_fp8 v[88:91], a[112:113], a[80:81], v[88:91]// 000000004200: D3F30058 1D62A170
	v_mfma_f32_16x16x32_fp8_fp8 v[88:91], a[114:115], a[82:83], v[88:91]// 000000004208: D3F30058 1D62A572
	buffer_load_dword v62, s[20:23], 0 offen lds               // 000000004210: E0511000 8005003E
	s_add_u32 m0, 0x500, s50                                   // 000000004218: 807C32FF 00000500
	v_mfma_f32_16x16x32_fp8_fp8 v[88:91], a[116:117], a[84:85], v[88:91]// 000000004220: D3F30058 1D62A974
	v_mfma_f32_16x16x32_fp8_fp8 v[88:91], a[118:119], a[86:87], v[88:91]// 000000004228: D3F30058 1D62AD76
	buffer_load_dword v63, s[20:23], 0 offen lds               // 000000004230: E0511000 8005003F
	s_add_u32 m0, 0x600, s50                                   // 000000004238: 807C32FF 00000600
	v_mfma_f32_16x16x32_fp8_fp8 v[92:95], a[112:113], a[88:89], v[92:95]// 000000004240: D3F3005C 1D72B170
	v_mfma_f32_16x16x32_fp8_fp8 v[92:95], a[114:115], a[90:91], v[92:95]// 000000004248: D3F3005C 1D72B572
	buffer_load_dword v64, s[20:23], 0 offen lds               // 000000004250: E0511000 80050040
	s_add_u32 m0, 0x700, s50                                   // 000000004258: 807C32FF 00000700
	v_mfma_f32_16x16x32_fp8_fp8 v[92:95], a[116:117], a[92:93], v[92:95]// 000000004260: D3F3005C 1D72B974
	v_mfma_f32_16x16x32_fp8_fp8 v[92:95], a[118:119], a[94:95], v[92:95]// 000000004268: D3F3005C 1D72BD76
	buffer_load_dword v65, s[20:23], 0 offen lds               // 000000004270: E0511000 80050041
	s_add_u32 m0, 0x800, s50                                   // 000000004278: 807C32FF 00000800
	v_mfma_f32_16x16x32_fp8_fp8 v[96:99], a[112:113], a[96:97], v[96:99]// 000000004280: D3F30060 1D82C170
	v_mfma_f32_16x16x32_fp8_fp8 v[96:99], a[114:115], a[98:99], v[96:99]// 000000004288: D3F30060 1D82C572
	buffer_load_dword v66, s[20:23], 0 offen lds               // 000000004290: E0511000 80050042
	s_add_u32 m0, 0x900, s50                                   // 000000004298: 807C32FF 00000900
	v_mfma_f32_16x16x32_fp8_fp8 v[96:99], a[116:117], a[100:101], v[96:99]// 0000000042A0: D3F30060 1D82C974
	v_mfma_f32_16x16x32_fp8_fp8 v[96:99], a[118:119], a[102:103], v[96:99]// 0000000042A8: D3F30060 1D82CD76
	buffer_load_dword v67, s[20:23], 0 offen lds               // 0000000042B0: E0511000 80050043
	s_add_u32 m0, 0xa00, s50                                   // 0000000042B8: 807C32FF 00000A00
	v_mfma_f32_16x16x32_fp8_fp8 v[100:103], a[112:113], a[104:105], v[100:103]// 0000000042C0: D3F30064 1D92D170
	v_mfma_f32_16x16x32_fp8_fp8 v[100:103], a[114:115], a[106:107], v[100:103]// 0000000042C8: D3F30064 1D92D572
	buffer_load_dword v68, s[20:23], 0 offen lds               // 0000000042D0: E0511000 80050044
	s_add_u32 m0, 0xb00, s50                                   // 0000000042D8: 807C32FF 00000B00
	v_mfma_f32_16x16x32_fp8_fp8 v[100:103], a[116:117], a[108:109], v[100:103]// 0000000042E0: D3F30064 1D92D974
	v_mfma_f32_16x16x32_fp8_fp8 v[100:103], a[118:119], a[110:111], v[100:103]// 0000000042E8: D3F30064 1D92DD76
	buffer_load_dword v69, s[20:23], 0 offen lds               // 0000000042F0: E0511000 80050045
	s_add_u32 m0, 0xc00, s50                                   // 0000000042F8: 807C32FF 00000C00
	buffer_load_dword v70, s[20:23], 0 offen lds               // 000000004300: E0511000 80050046
	s_add_u32 m0, 0xd00, s50                                   // 000000004308: 807C32FF 00000D00
	buffer_load_dword v71, s[20:23], 0 offen lds               // 000000004310: E0511000 80050047
	s_add_u32 m0, 0, s48                                       // 000000004318: 807C3080
	s_waitcnt vmcnt(16)                                        // 00000000431C: BF8C4F70
	s_barrier                                                  // 000000004320: BF8A0000
	v_mfma_f32_16x16x32_fp8_fp8 v[104:107], a[120:121], a[56:57], v[104:107]// 000000004324: D3F30068 1DA27178
	v_mfma_f32_16x16x32_fp8_fp8 v[104:107], a[122:123], a[58:59], v[104:107]// 00000000432C: D3F30068 1DA2757A
	buffer_load_dwordx4 a[112:115], v72, s[84:87], 0 offen     // 000000004334: E05C1000 80957048
	v_mfma_f32_16x16x32_fp8_fp8 v[104:107], a[124:125], a[60:61], v[104:107]// 00000000433C: D3F30068 1DA2797C
	v_mfma_f32_16x16x32_fp8_fp8 v[104:107], a[126:127], a[62:63], v[104:107]// 000000004344: D3F30068 1DA27D7E
	ds_read_b128 a[0:3], v2 offset:14464                       // 00000000434C: DBFE3880 00000002
	ds_read_b128 a[4:7], v2 offset:14528                       // 000000004354: DBFE38C0 04000002
	v_mfma_f32_16x16x32_fp8_fp8 v[108:111], a[120:121], a[64:65], v[108:111]// 00000000435C: D3F3006C 1DB28178
	v_mfma_f32_16x16x32_fp8_fp8 v[108:111], a[122:123], a[66:67], v[108:111]// 000000004364: D3F3006C 1DB2857A
	buffer_load_dwordx4 a[116:119], v72, s[84:87], 0 offen offset:1024// 00000000436C: E05C1400 80957448
	v_mfma_f32_16x16x32_fp8_fp8 v[108:111], a[124:125], a[68:69], v[108:111]// 000000004374: D3F3006C 1DB2897C
	v_mfma_f32_16x16x32_fp8_fp8 v[108:111], a[126:127], a[70:71], v[108:111]// 00000000437C: D3F3006C 1DB28D7E
	ds_read_b128 a[8:11], v2 offset:14976                      // 000000004384: DBFE3A80 08000002
	ds_read_b128 a[12:15], v2 offset:15040                     // 00000000438C: DBFE3AC0 0C000002
	v_mfma_f32_16x16x32_fp8_fp8 v[112:115], a[120:121], a[72:73], v[112:115]// 000000004394: D3F30070 1DC29178
	v_mfma_f32_16x16x32_fp8_fp8 v[112:115], a[122:123], a[74:75], v[112:115]// 00000000439C: D3F30070 1DC2957A
	v_mfma_f32_16x16x32_fp8_fp8 v[112:115], a[124:125], a[76:77], v[112:115]// 0000000043A4: D3F30070 1DC2997C
	v_mfma_f32_16x16x32_fp8_fp8 v[112:115], a[126:127], a[78:79], v[112:115]// 0000000043AC: D3F30070 1DC29D7E
	ds_read_b128 a[16:19], v2 offset:15488                     // 0000000043B4: DBFE3C80 10000002
	ds_read_b128 a[20:23], v2 offset:15552                     // 0000000043BC: DBFE3CC0 14000002
	v_mfma_f32_16x16x32_fp8_fp8 v[116:119], a[120:121], a[80:81], v[116:119]// 0000000043C4: D3F30074 1DD2A178
	v_mfma_f32_16x16x32_fp8_fp8 v[116:119], a[122:123], a[82:83], v[116:119]// 0000000043CC: D3F30074 1DD2A57A
	v_mfma_f32_16x16x32_fp8_fp8 v[116:119], a[124:125], a[84:85], v[116:119]// 0000000043D4: D3F30074 1DD2A97C
	v_mfma_f32_16x16x32_fp8_fp8 v[116:119], a[126:127], a[86:87], v[116:119]// 0000000043DC: D3F30074 1DD2AD7E
	ds_read_b128 a[24:27], v2 offset:16000                     // 0000000043E4: DBFE3E80 18000002
	ds_read_b128 a[28:31], v2 offset:16064                     // 0000000043EC: DBFE3EC0 1C000002
	v_mfma_f32_16x16x32_fp8_fp8 v[120:123], a[120:121], a[88:89], v[120:123]// 0000000043F4: D3F30078 1DE2B178
	v_mfma_f32_16x16x32_fp8_fp8 v[120:123], a[122:123], a[90:91], v[120:123]// 0000000043FC: D3F30078 1DE2B57A
	v_mfma_f32_16x16x32_fp8_fp8 v[120:123], a[124:125], a[92:93], v[120:123]// 000000004404: D3F30078 1DE2B97C
	v_mfma_f32_16x16x32_fp8_fp8 v[120:123], a[126:127], a[94:95], v[120:123]// 00000000440C: D3F30078 1DE2BD7E
	ds_read_b128 a[32:35], v2 offset:16512                     // 000000004414: DBFE4080 20000002
	ds_read_b128 a[36:39], v2 offset:16576                     // 00000000441C: DBFE40C0 24000002
	v_mfma_f32_16x16x32_fp8_fp8 v[124:127], a[120:121], a[96:97], v[124:127]// 000000004424: D3F3007C 1DF2C178
	s_add_u32 s60, 0x180, s80                                  // 00000000442C: 803C50FF 00000180
	s_cmp_lt_u32 s60, s81                                      // 000000004434: BF0A513C
	s_cselect_b32 s57, s57, 0                                  // 000000004438: 85398039
	v_mfma_f32_16x16x32_fp8_fp8 v[124:127], a[122:123], a[98:99], v[124:127]// 00000000443C: D3F3007C 1DF2C57A
	s_add_u32 s60, 0x100, s80                                  // 000000004444: 803C50FF 00000100
	s_cmp_lt_u32 s60, s81                                      // 00000000444C: BF0A513C
	s_cselect_b32 s58, s58, 0                                  // 000000004450: 853A803A
	v_mfma_f32_16x16x32_fp8_fp8 v[124:127], a[124:125], a[100:101], v[124:127]// 000000004454: D3F3007C 1DF2C97C
	s_add_u32 s60, 0x100, s80                                  // 00000000445C: 803C50FF 00000100
	s_cmp_lt_u32 s60, s81                                      // 000000004464: BF0A513C
	s_cselect_b32 s83, s83, 0                                  // 000000004468: 85538053
	v_mfma_f32_16x16x32_fp8_fp8 v[124:127], a[126:127], a[102:103], v[124:127]// 00000000446C: D3F3007C 1DF2CD7E
	ds_read_b128 a[40:43], v2 offset:17024                     // 000000004474: DBFE4280 28000002
	ds_read_b128 a[44:47], v2 offset:17088                     // 00000000447C: DBFE42C0 2C000002
	s_add_u32 s24, s58, s24                                    // 000000004484: 8018183A
	s_addc_u32 s25, 0, s25                                     // 000000004488: 82191980
	v_mfma_f32_16x16x32_fp8_fp8 v[128:131], a[120:121], a[104:105], v[128:131]// 00000000448C: D3F30080 1E02D178
	s_add_u32 s20, s57, s20                                    // 000000004494: 80141439
	s_addc_u32 s21, 0, s21                                     // 000000004498: 82151580
	v_mfma_f32_16x16x32_fp8_fp8 v[128:131], a[122:123], a[106:107], v[128:131]// 00000000449C: D3F30080 1E02D57A
	s_add_u32 s84, s83, s84                                    // 0000000044A4: 80545453
	s_addc_u32 s85, 0, s85                                     // 0000000044A8: 82555580
	v_mfma_f32_16x16x32_fp8_fp8 v[128:131], a[124:125], a[108:109], v[128:131]// 0000000044AC: D3F30080 1E02D97C
	v_mfma_f32_16x16x32_fp8_fp8 v[128:131], a[126:127], a[110:111], v[128:131]// 0000000044B4: D3F30080 1E02DD7E
	ds_read_b128 a[48:51], v2 offset:17536                     // 0000000044BC: DBFE4480 30000002
	ds_read_b128 a[52:55], v2 offset:17600                     // 0000000044C4: DBFE44C0 34000002
	s_addk_i32 s80, 0x80                                       // 0000000044CC: B7500080
	s_cmp_lt_i32 s80, s81                                      // 0000000044D0: BF045150
	s_cbranch_scc0 label_087D                                  // 0000000044D4: BF8401C7
	s_waitcnt vmcnt(16) lgkmcnt(0)                             // 0000000044D8: BF8C4070
	v_mfma_f32_16x16x32_fp8_fp8 v[76:79], a[128:129], a[0:1], v[76:79]// 0000000044DC: D3F3004C 1D320180
	v_mfma_f32_16x16x32_fp8_fp8 v[76:79], a[130:131], a[2:3], v[76:79]// 0000000044E4: D3F3004C 1D320582
	buffer_load_dwordx4 a[120:123], v72, s[24:27], 0 offen     // 0000000044EC: E05C1000 80867848
	v_mfma_f32_16x16x32_fp8_fp8 v[76:79], a[132:133], a[4:5], v[76:79]// 0000000044F4: D3F3004C 1D320984
	v_mfma_f32_16x16x32_fp8_fp8 v[76:79], a[134:135], a[6:7], v[76:79]// 0000000044FC: D3F3004C 1D320D86
	v_mfma_f32_16x16x32_fp8_fp8 v[80:83], a[128:129], a[8:9], v[80:83]// 000000004504: D3F30050 1D421180
	v_mfma_f32_16x16x32_fp8_fp8 v[80:83], a[130:131], a[10:11], v[80:83]// 00000000450C: D3F30050 1D421582
	buffer_load_dwordx4 a[124:127], v72, s[24:27], 0 offen offset:1024// 000000004514: E05C1400 80867C48
	buffer_load_dword v58, s[20:23], 0 offen lds               // 00000000451C: E0511000 8005003A
	s_add_u32 m0, 0x100, s48                                   // 000000004524: 807C30FF 00000100
	v_mfma_f32_16x16x32_fp8_fp8 v[80:83], a[132:133], a[12:13], v[80:83]// 00000000452C: D3F30050 1D421984
	v_mfma_f32_16x16x32_fp8_fp8 v[80:83], a[134:135], a[14:15], v[80:83]// 000000004534: D3F30050 1D421D86
	buffer_load_dword v59, s[20:23], 0 offen lds               // 00000000453C: E0511000 8005003B
	s_add_u32 m0, 0x200, s48                                   // 000000004544: 807C30FF 00000200
	v_mfma_f32_16x16x32_fp8_fp8 v[84:87], a[128:129], a[16:17], v[84:87]// 00000000454C: D3F30054 1D522180
	v_mfma_f32_16x16x32_fp8_fp8 v[84:87], a[130:131], a[18:19], v[84:87]// 000000004554: D3F30054 1D522582
	buffer_load_dword v60, s[20:23], 0 offen lds               // 00000000455C: E0511000 8005003C
	s_add_u32 m0, 0x300, s48                                   // 000000004564: 807C30FF 00000300
	v_mfma_f32_16x16x32_fp8_fp8 v[84:87], a[132:133], a[20:21], v[84:87]// 00000000456C: D3F30054 1D522984
	v_mfma_f32_16x16x32_fp8_fp8 v[84:87], a[134:135], a[22:23], v[84:87]// 000000004574: D3F30054 1D522D86
	buffer_load_dword v61, s[20:23], 0 offen lds               // 00000000457C: E0511000 8005003D
	s_add_u32 m0, 0x400, s48                                   // 000000004584: 807C30FF 00000400
	v_mfma_f32_16x16x32_fp8_fp8 v[88:91], a[128:129], a[24:25], v[88:91]// 00000000458C: D3F30058 1D623180
	v_mfma_f32_16x16x32_fp8_fp8 v[88:91], a[130:131], a[26:27], v[88:91]// 000000004594: D3F30058 1D623582
	buffer_load_dword v62, s[20:23], 0 offen lds               // 00000000459C: E0511000 8005003E
	s_add_u32 m0, 0x500, s48                                   // 0000000045A4: 807C30FF 00000500
	v_mfma_f32_16x16x32_fp8_fp8 v[88:91], a[132:133], a[28:29], v[88:91]// 0000000045AC: D3F30058 1D623984
	v_mfma_f32_16x16x32_fp8_fp8 v[88:91], a[134:135], a[30:31], v[88:91]// 0000000045B4: D3F30058 1D623D86
	buffer_load_dword v63, s[20:23], 0 offen lds               // 0000000045BC: E0511000 8005003F
	s_add_u32 m0, 0x600, s48                                   // 0000000045C4: 807C30FF 00000600
	v_mfma_f32_16x16x32_fp8_fp8 v[92:95], a[128:129], a[32:33], v[92:95]// 0000000045CC: D3F3005C 1D724180
	v_mfma_f32_16x16x32_fp8_fp8 v[92:95], a[130:131], a[34:35], v[92:95]// 0000000045D4: D3F3005C 1D724582
	buffer_load_dword v64, s[20:23], 0 offen lds               // 0000000045DC: E0511000 80050040
	s_add_u32 m0, 0x700, s48                                   // 0000000045E4: 807C30FF 00000700
	v_mfma_f32_16x16x32_fp8_fp8 v[92:95], a[132:133], a[36:37], v[92:95]// 0000000045EC: D3F3005C 1D724984
	v_mfma_f32_16x16x32_fp8_fp8 v[92:95], a[134:135], a[38:39], v[92:95]// 0000000045F4: D3F3005C 1D724D86
	buffer_load_dword v65, s[20:23], 0 offen lds               // 0000000045FC: E0511000 80050041
	s_add_u32 m0, 0x800, s48                                   // 000000004604: 807C30FF 00000800
	v_mfma_f32_16x16x32_fp8_fp8 v[96:99], a[128:129], a[40:41], v[96:99]// 00000000460C: D3F30060 1D825180
	v_mfma_f32_16x16x32_fp8_fp8 v[96:99], a[130:131], a[42:43], v[96:99]// 000000004614: D3F30060 1D825582
	buffer_load_dword v66, s[20:23], 0 offen lds               // 00000000461C: E0511000 80050042
	s_add_u32 m0, 0x900, s48                                   // 000000004624: 807C30FF 00000900
	v_mfma_f32_16x16x32_fp8_fp8 v[96:99], a[132:133], a[44:45], v[96:99]// 00000000462C: D3F30060 1D825984
	v_mfma_f32_16x16x32_fp8_fp8 v[96:99], a[134:135], a[46:47], v[96:99]// 000000004634: D3F30060 1D825D86
	buffer_load_dword v67, s[20:23], 0 offen lds               // 00000000463C: E0511000 80050043
	s_add_u32 m0, 0xa00, s48                                   // 000000004644: 807C30FF 00000A00
	v_mfma_f32_16x16x32_fp8_fp8 v[100:103], a[128:129], a[48:49], v[100:103]// 00000000464C: D3F30064 1D926180
	v_mfma_f32_16x16x32_fp8_fp8 v[100:103], a[130:131], a[50:51], v[100:103]// 000000004654: D3F30064 1D926582
	buffer_load_dword v68, s[20:23], 0 offen lds               // 00000000465C: E0511000 80050044
	s_add_u32 m0, 0xb00, s48                                   // 000000004664: 807C30FF 00000B00
	v_mfma_f32_16x16x32_fp8_fp8 v[100:103], a[132:133], a[52:53], v[100:103]// 00000000466C: D3F30064 1D926984
	v_mfma_f32_16x16x32_fp8_fp8 v[100:103], a[134:135], a[54:55], v[100:103]// 000000004674: D3F30064 1D926D86
	buffer_load_dword v69, s[20:23], 0 offen lds               // 00000000467C: E0511000 80050045
	s_add_u32 m0, 0xc00, s48                                   // 000000004684: 807C30FF 00000C00
	buffer_load_dword v70, s[20:23], 0 offen lds               // 00000000468C: E0511000 80050046
	s_add_u32 m0, 0xd00, s48                                   // 000000004694: 807C30FF 00000D00
	buffer_load_dword v71, s[20:23], 0 offen lds               // 00000000469C: E0511000 80050047
	s_add_u32 m0, 0, s49                                       // 0000000046A4: 807C3180
	s_waitcnt vmcnt(16)                                        // 0000000046A8: BF8C4F70
	s_barrier                                                  // 0000000046AC: BF8A0000
	v_mfma_f32_16x16x32_fp8_fp8 v[104:107], a[112:113], a[0:1], v[104:107]// 0000000046B0: D3F30068 1DA20170
	v_mfma_f32_16x16x32_fp8_fp8 v[104:107], a[114:115], a[2:3], v[104:107]// 0000000046B8: D3F30068 1DA20572
	buffer_load_dwordx4 a[128:131], v72, s[84:87], 0 offen     // 0000000046C0: E05C1000 80958048
	v_mfma_f32_16x16x32_fp8_fp8 v[104:107], a[116:117], a[4:5], v[104:107]// 0000000046C8: D3F30068 1DA20974
	v_mfma_f32_16x16x32_fp8_fp8 v[104:107], a[118:119], a[6:7], v[104:107]// 0000000046D0: D3F30068 1DA20D76
	ds_read_b128 a[56:59], v2 offset:28928                     // 0000000046D8: DBFE7100 38000002
	ds_read_b128 a[60:63], v2 offset:28992                     // 0000000046E0: DBFE7140 3C000002
	v_mfma_f32_16x16x32_fp8_fp8 v[108:111], a[112:113], a[8:9], v[108:111]// 0000000046E8: D3F3006C 1DB21170
	v_mfma_f32_16x16x32_fp8_fp8 v[108:111], a[114:115], a[10:11], v[108:111]// 0000000046F0: D3F3006C 1DB21572
	buffer_load_dwordx4 a[132:135], v72, s[84:87], 0 offen offset:1024// 0000000046F8: E05C1400 80958448
	v_mfma_f32_16x16x32_fp8_fp8 v[108:111], a[116:117], a[12:13], v[108:111]// 000000004700: D3F3006C 1DB21974
	v_mfma_f32_16x16x32_fp8_fp8 v[108:111], a[118:119], a[14:15], v[108:111]// 000000004708: D3F3006C 1DB21D76
	ds_read_b128 a[64:67], v2 offset:29440                     // 000000004710: DBFE7300 40000002
	ds_read_b128 a[68:71], v2 offset:29504                     // 000000004718: DBFE7340 44000002
	v_mfma_f32_16x16x32_fp8_fp8 v[112:115], a[112:113], a[16:17], v[112:115]// 000000004720: D3F30070 1DC22170
	v_mfma_f32_16x16x32_fp8_fp8 v[112:115], a[114:115], a[18:19], v[112:115]// 000000004728: D3F30070 1DC22572
	v_mfma_f32_16x16x32_fp8_fp8 v[112:115], a[116:117], a[20:21], v[112:115]// 000000004730: D3F30070 1DC22974
	v_mfma_f32_16x16x32_fp8_fp8 v[112:115], a[118:119], a[22:23], v[112:115]// 000000004738: D3F30070 1DC22D76
	ds_read_b128 a[72:75], v2 offset:29952                     // 000000004740: DBFE7500 48000002
	ds_read_b128 a[76:79], v2 offset:30016                     // 000000004748: DBFE7540 4C000002
	v_mfma_f32_16x16x32_fp8_fp8 v[116:119], a[112:113], a[24:25], v[116:119]// 000000004750: D3F30074 1DD23170
	v_mfma_f32_16x16x32_fp8_fp8 v[116:119], a[114:115], a[26:27], v[116:119]// 000000004758: D3F30074 1DD23572
	v_mfma_f32_16x16x32_fp8_fp8 v[116:119], a[116:117], a[28:29], v[116:119]// 000000004760: D3F30074 1DD23974
	v_mfma_f32_16x16x32_fp8_fp8 v[116:119], a[118:119], a[30:31], v[116:119]// 000000004768: D3F30074 1DD23D76
	ds_read_b128 a[80:83], v2 offset:30464                     // 000000004770: DBFE7700 50000002
	ds_read_b128 a[84:87], v2 offset:30528                     // 000000004778: DBFE7740 54000002
	v_mfma_f32_16x16x32_fp8_fp8 v[120:123], a[112:113], a[32:33], v[120:123]// 000000004780: D3F30078 1DE24170
	v_mfma_f32_16x16x32_fp8_fp8 v[120:123], a[114:115], a[34:35], v[120:123]// 000000004788: D3F30078 1DE24572
	v_mfma_f32_16x16x32_fp8_fp8 v[120:123], a[116:117], a[36:37], v[120:123]// 000000004790: D3F30078 1DE24974
	v_mfma_f32_16x16x32_fp8_fp8 v[120:123], a[118:119], a[38:39], v[120:123]// 000000004798: D3F30078 1DE24D76
	ds_read_b128 a[88:91], v2 offset:30976                     // 0000000047A0: DBFE7900 58000002
	ds_read_b128 a[92:95], v2 offset:31040                     // 0000000047A8: DBFE7940 5C000002
	v_mfma_f32_16x16x32_fp8_fp8 v[124:127], a[112:113], a[40:41], v[124:127]// 0000000047B0: D3F3007C 1DF25170
	s_add_u32 s60, 0x180, s80                                  // 0000000047B8: 803C50FF 00000180
	s_cmp_lt_u32 s60, s81                                      // 0000000047C0: BF0A513C
	s_cselect_b32 s57, s57, 0                                  // 0000000047C4: 85398039
	v_mfma_f32_16x16x32_fp8_fp8 v[124:127], a[114:115], a[42:43], v[124:127]// 0000000047C8: D3F3007C 1DF25572
	s_add_u32 s60, 0x100, s80                                  // 0000000047D0: 803C50FF 00000100
	s_cmp_lt_u32 s60, s81                                      // 0000000047D8: BF0A513C
	s_cselect_b32 s58, s58, 0                                  // 0000000047DC: 853A803A
	v_mfma_f32_16x16x32_fp8_fp8 v[124:127], a[116:117], a[44:45], v[124:127]// 0000000047E0: D3F3007C 1DF25974
	s_add_u32 s60, 0x100, s80                                  // 0000000047E8: 803C50FF 00000100
	s_cmp_lt_u32 s60, s81                                      // 0000000047F0: BF0A513C
	s_cselect_b32 s83, s83, 0                                  // 0000000047F4: 85538053
	v_mfma_f32_16x16x32_fp8_fp8 v[124:127], a[118:119], a[46:47], v[124:127]// 0000000047F8: D3F3007C 1DF25D76
	ds_read_b128 a[96:99], v2 offset:31488                     // 000000004800: DBFE7B00 60000002
	ds_read_b128 a[100:103], v2 offset:31552                   // 000000004808: DBFE7B40 64000002
	s_add_u32 s24, s58, s24                                    // 000000004810: 8018183A
	s_addc_u32 s25, 0, s25                                     // 000000004814: 82191980
	v_mfma_f32_16x16x32_fp8_fp8 v[128:131], a[112:113], a[48:49], v[128:131]// 000000004818: D3F30080 1E026170
	s_add_u32 s20, s57, s20                                    // 000000004820: 80141439
	s_addc_u32 s21, 0, s21                                     // 000000004824: 82151580
	v_mfma_f32_16x16x32_fp8_fp8 v[128:131], a[114:115], a[50:51], v[128:131]// 000000004828: D3F30080 1E026572
	s_add_u32 s84, s83, s84                                    // 000000004830: 80545453
	s_addc_u32 s85, 0, s85                                     // 000000004834: 82555580
	v_mfma_f32_16x16x32_fp8_fp8 v[128:131], a[116:117], a[52:53], v[128:131]// 000000004838: D3F30080 1E026974
	v_mfma_f32_16x16x32_fp8_fp8 v[128:131], a[118:119], a[54:55], v[128:131]// 000000004840: D3F30080 1E026D76
	ds_read_b128 a[104:107], v2 offset:32000                   // 000000004848: DBFE7D00 68000002
	ds_read_b128 a[108:111], v2 offset:32064                   // 000000004850: DBFE7D40 6C000002
	s_addk_i32 s80, 0x80                                       // 000000004858: B7500080
	s_cmp_lt_i32 s80, s81                                      // 00000000485C: BF045150
	s_cbranch_scc0 label_087D                                  // 000000004860: BF8400E4
	s_waitcnt vmcnt(16) lgkmcnt(0)                             // 000000004864: BF8C4070
	v_mfma_f32_16x16x32_fp8_fp8 v[76:79], a[120:121], a[56:57], v[76:79]// 000000004868: D3F3004C 1D327178
	v_mfma_f32_16x16x32_fp8_fp8 v[76:79], a[122:123], a[58:59], v[76:79]// 000000004870: D3F3004C 1D32757A
	buffer_load_dwordx4 a[112:115], v72, s[24:27], 0 offen     // 000000004878: E05C1000 80867048
	v_mfma_f32_16x16x32_fp8_fp8 v[76:79], a[124:125], a[60:61], v[76:79]// 000000004880: D3F3004C 1D32797C
	v_mfma_f32_16x16x32_fp8_fp8 v[76:79], a[126:127], a[62:63], v[76:79]// 000000004888: D3F3004C 1D327D7E
	v_mfma_f32_16x16x32_fp8_fp8 v[80:83], a[120:121], a[64:65], v[80:83]// 000000004890: D3F30050 1D428178
	v_mfma_f32_16x16x32_fp8_fp8 v[80:83], a[122:123], a[66:67], v[80:83]// 000000004898: D3F30050 1D42857A
	buffer_load_dwordx4 a[116:119], v72, s[24:27], 0 offen offset:1024// 0000000048A0: E05C1400 80867448
	buffer_load_dword v58, s[20:23], 0 offen lds               // 0000000048A8: E0511000 8005003A
	s_add_u32 m0, 0x100, s49                                   // 0000000048B0: 807C31FF 00000100
	v_mfma_f32_16x16x32_fp8_fp8 v[80:83], a[124:125], a[68:69], v[80:83]// 0000000048B8: D3F30050 1D42897C
	v_mfma_f32_16x16x32_fp8_fp8 v[80:83], a[126:127], a[70:71], v[80:83]// 0000000048C0: D3F30050 1D428D7E
	buffer_load_dword v59, s[20:23], 0 offen lds               // 0000000048C8: E0511000 8005003B
	s_add_u32 m0, 0x200, s49                                   // 0000000048D0: 807C31FF 00000200
	v_mfma_f32_16x16x32_fp8_fp8 v[84:87], a[120:121], a[72:73], v[84:87]// 0000000048D8: D3F30054 1D529178
	v_mfma_f32_16x16x32_fp8_fp8 v[84:87], a[122:123], a[74:75], v[84:87]// 0000000048E0: D3F30054 1D52957A
	buffer_load_dword v60, s[20:23], 0 offen lds               // 0000000048E8: E0511000 8005003C
	s_add_u32 m0, 0x300, s49                                   // 0000000048F0: 807C31FF 00000300
	v_mfma_f32_16x16x32_fp8_fp8 v[84:87], a[124:125], a[76:77], v[84:87]// 0000000048F8: D3F30054 1D52997C
	v_mfma_f32_16x16x32_fp8_fp8 v[84:87], a[126:127], a[78:79], v[84:87]// 000000004900: D3F30054 1D529D7E
	buffer_load_dword v61, s[20:23], 0 offen lds               // 000000004908: E0511000 8005003D
	s_add_u32 m0, 0x400, s49                                   // 000000004910: 807C31FF 00000400
	v_mfma_f32_16x16x32_fp8_fp8 v[88:91], a[120:121], a[80:81], v[88:91]// 000000004918: D3F30058 1D62A178
	v_mfma_f32_16x16x32_fp8_fp8 v[88:91], a[122:123], a[82:83], v[88:91]// 000000004920: D3F30058 1D62A57A
	buffer_load_dword v62, s[20:23], 0 offen lds               // 000000004928: E0511000 8005003E
	s_add_u32 m0, 0x500, s49                                   // 000000004930: 807C31FF 00000500
	v_mfma_f32_16x16x32_fp8_fp8 v[88:91], a[124:125], a[84:85], v[88:91]// 000000004938: D3F30058 1D62A97C
	v_mfma_f32_16x16x32_fp8_fp8 v[88:91], a[126:127], a[86:87], v[88:91]// 000000004940: D3F30058 1D62AD7E
	buffer_load_dword v63, s[20:23], 0 offen lds               // 000000004948: E0511000 8005003F
	s_add_u32 m0, 0x600, s49                                   // 000000004950: 807C31FF 00000600
	v_mfma_f32_16x16x32_fp8_fp8 v[92:95], a[120:121], a[88:89], v[92:95]// 000000004958: D3F3005C 1D72B178
	v_mfma_f32_16x16x32_fp8_fp8 v[92:95], a[122:123], a[90:91], v[92:95]// 000000004960: D3F3005C 1D72B57A
	buffer_load_dword v64, s[20:23], 0 offen lds               // 000000004968: E0511000 80050040
	s_add_u32 m0, 0x700, s49                                   // 000000004970: 807C31FF 00000700
	v_mfma_f32_16x16x32_fp8_fp8 v[92:95], a[124:125], a[92:93], v[92:95]// 000000004978: D3F3005C 1D72B97C
	v_mfma_f32_16x16x32_fp8_fp8 v[92:95], a[126:127], a[94:95], v[92:95]// 000000004980: D3F3005C 1D72BD7E
	buffer_load_dword v65, s[20:23], 0 offen lds               // 000000004988: E0511000 80050041
	s_add_u32 m0, 0x800, s49                                   // 000000004990: 807C31FF 00000800
	v_mfma_f32_16x16x32_fp8_fp8 v[96:99], a[120:121], a[96:97], v[96:99]// 000000004998: D3F30060 1D82C178
	v_mfma_f32_16x16x32_fp8_fp8 v[96:99], a[122:123], a[98:99], v[96:99]// 0000000049A0: D3F30060 1D82C57A
	buffer_load_dword v66, s[20:23], 0 offen lds               // 0000000049A8: E0511000 80050042
	s_add_u32 m0, 0x900, s49                                   // 0000000049B0: 807C31FF 00000900
	v_mfma_f32_16x16x32_fp8_fp8 v[96:99], a[124:125], a[100:101], v[96:99]// 0000000049B8: D3F30060 1D82C97C
	v_mfma_f32_16x16x32_fp8_fp8 v[96:99], a[126:127], a[102:103], v[96:99]// 0000000049C0: D3F30060 1D82CD7E
	buffer_load_dword v67, s[20:23], 0 offen lds               // 0000000049C8: E0511000 80050043
	s_add_u32 m0, 0xa00, s49                                   // 0000000049D0: 807C31FF 00000A00
	v_mfma_f32_16x16x32_fp8_fp8 v[100:103], a[120:121], a[104:105], v[100:103]// 0000000049D8: D3F30064 1D92D178
	v_mfma_f32_16x16x32_fp8_fp8 v[100:103], a[122:123], a[106:107], v[100:103]// 0000000049E0: D3F30064 1D92D57A
	buffer_load_dword v68, s[20:23], 0 offen lds               // 0000000049E8: E0511000 80050044
	s_add_u32 m0, 0xb00, s49                                   // 0000000049F0: 807C31FF 00000B00
	v_mfma_f32_16x16x32_fp8_fp8 v[100:103], a[124:125], a[108:109], v[100:103]// 0000000049F8: D3F30064 1D92D97C
	v_mfma_f32_16x16x32_fp8_fp8 v[100:103], a[126:127], a[110:111], v[100:103]// 000000004A00: D3F30064 1D92DD7E
	buffer_load_dword v69, s[20:23], 0 offen lds               // 000000004A08: E0511000 80050045
	s_add_u32 m0, 0xc00, s49                                   // 000000004A10: 807C31FF 00000C00
	buffer_load_dword v70, s[20:23], 0 offen lds               // 000000004A18: E0511000 80050046
	s_add_u32 m0, 0xd00, s49                                   // 000000004A20: 807C31FF 00000D00
	buffer_load_dword v71, s[20:23], 0 offen lds               // 000000004A28: E0511000 80050047
	s_add_u32 m0, 0, s50                                       // 000000004A30: 807C3280
	s_waitcnt vmcnt(16)                                        // 000000004A34: BF8C4F70
	s_barrier                                                  // 000000004A38: BF8A0000
	v_mfma_f32_16x16x32_fp8_fp8 v[104:107], a[128:129], a[56:57], v[104:107]// 000000004A3C: D3F30068 1DA27180
	v_mfma_f32_16x16x32_fp8_fp8 v[104:107], a[130:131], a[58:59], v[104:107]// 000000004A44: D3F30068 1DA27582
	buffer_load_dwordx4 a[120:123], v72, s[84:87], 0 offen     // 000000004A4C: E05C1000 80957848
	v_mfma_f32_16x16x32_fp8_fp8 v[104:107], a[132:133], a[60:61], v[104:107]// 000000004A54: D3F30068 1DA27984
	v_mfma_f32_16x16x32_fp8_fp8 v[104:107], a[134:135], a[62:63], v[104:107]// 000000004A5C: D3F30068 1DA27D86
	ds_read_b128 a[0:3], v2                                    // 000000004A64: DBFE0000 00000002
	ds_read_b128 a[4:7], v2 offset:64                          // 000000004A6C: DBFE0040 04000002
	v_mfma_f32_16x16x32_fp8_fp8 v[108:111], a[128:129], a[64:65], v[108:111]// 000000004A74: D3F3006C 1DB28180
	v_mfma_f32_16x16x32_fp8_fp8 v[108:111], a[130:131], a[66:67], v[108:111]// 000000004A7C: D3F3006C 1DB28582
	buffer_load_dwordx4 a[124:127], v72, s[84:87], 0 offen offset:1024// 000000004A84: E05C1400 80957C48
	v_mfma_f32_16x16x32_fp8_fp8 v[108:111], a[132:133], a[68:69], v[108:111]// 000000004A8C: D3F3006C 1DB28984
	v_mfma_f32_16x16x32_fp8_fp8 v[108:111], a[134:135], a[70:71], v[108:111]// 000000004A94: D3F3006C 1DB28D86
	ds_read_b128 a[8:11], v2 offset:512                        // 000000004A9C: DBFE0200 08000002
	ds_read_b128 a[12:15], v2 offset:576                       // 000000004AA4: DBFE0240 0C000002
	v_mfma_f32_16x16x32_fp8_fp8 v[112:115], a[128:129], a[72:73], v[112:115]// 000000004AAC: D3F30070 1DC29180
	v_mfma_f32_16x16x32_fp8_fp8 v[112:115], a[130:131], a[74:75], v[112:115]// 000000004AB4: D3F30070 1DC29582
	v_mfma_f32_16x16x32_fp8_fp8 v[112:115], a[132:133], a[76:77], v[112:115]// 000000004ABC: D3F30070 1DC29984
	v_mfma_f32_16x16x32_fp8_fp8 v[112:115], a[134:135], a[78:79], v[112:115]// 000000004AC4: D3F30070 1DC29D86
	ds_read_b128 a[16:19], v2 offset:1024                      // 000000004ACC: DBFE0400 10000002
	ds_read_b128 a[20:23], v2 offset:1088                      // 000000004AD4: DBFE0440 14000002
	v_mfma_f32_16x16x32_fp8_fp8 v[116:119], a[128:129], a[80:81], v[116:119]// 000000004ADC: D3F30074 1DD2A180
	v_mfma_f32_16x16x32_fp8_fp8 v[116:119], a[130:131], a[82:83], v[116:119]// 000000004AE4: D3F30074 1DD2A582
	v_mfma_f32_16x16x32_fp8_fp8 v[116:119], a[132:133], a[84:85], v[116:119]// 000000004AEC: D3F30074 1DD2A984
	v_mfma_f32_16x16x32_fp8_fp8 v[116:119], a[134:135], a[86:87], v[116:119]// 000000004AF4: D3F30074 1DD2AD86
	ds_read_b128 a[24:27], v2 offset:1536                      // 000000004AFC: DBFE0600 18000002
	ds_read_b128 a[28:31], v2 offset:1600                      // 000000004B04: DBFE0640 1C000002
	v_mfma_f32_16x16x32_fp8_fp8 v[120:123], a[128:129], a[88:89], v[120:123]// 000000004B0C: D3F30078 1DE2B180
	v_mfma_f32_16x16x32_fp8_fp8 v[120:123], a[130:131], a[90:91], v[120:123]// 000000004B14: D3F30078 1DE2B582
	v_mfma_f32_16x16x32_fp8_fp8 v[120:123], a[132:133], a[92:93], v[120:123]// 000000004B1C: D3F30078 1DE2B984
	v_mfma_f32_16x16x32_fp8_fp8 v[120:123], a[134:135], a[94:95], v[120:123]// 000000004B24: D3F30078 1DE2BD86
	ds_read_b128 a[32:35], v2 offset:2048                      // 000000004B2C: DBFE0800 20000002
	ds_read_b128 a[36:39], v2 offset:2112                      // 000000004B34: DBFE0840 24000002
	v_mfma_f32_16x16x32_fp8_fp8 v[124:127], a[128:129], a[96:97], v[124:127]// 000000004B3C: D3F3007C 1DF2C180
	s_add_u32 s60, 0x180, s80                                  // 000000004B44: 803C50FF 00000180
	s_cmp_lt_u32 s60, s81                                      // 000000004B4C: BF0A513C
	s_cselect_b32 s57, s57, 0                                  // 000000004B50: 85398039
	v_mfma_f32_16x16x32_fp8_fp8 v[124:127], a[130:131], a[98:99], v[124:127]// 000000004B54: D3F3007C 1DF2C582
	s_add_u32 s60, 0x100, s80                                  // 000000004B5C: 803C50FF 00000100
	s_cmp_lt_u32 s60, s81                                      // 000000004B64: BF0A513C
	s_cselect_b32 s58, s58, 0                                  // 000000004B68: 853A803A
	v_mfma_f32_16x16x32_fp8_fp8 v[124:127], a[132:133], a[100:101], v[124:127]// 000000004B6C: D3F3007C 1DF2C984
	s_add_u32 s60, 0x100, s80                                  // 000000004B74: 803C50FF 00000100
	s_cmp_lt_u32 s60, s81                                      // 000000004B7C: BF0A513C
	s_cselect_b32 s83, s83, 0                                  // 000000004B80: 85538053
	v_mfma_f32_16x16x32_fp8_fp8 v[124:127], a[134:135], a[102:103], v[124:127]// 000000004B84: D3F3007C 1DF2CD86
	ds_read_b128 a[40:43], v2 offset:2560                      // 000000004B8C: DBFE0A00 28000002
	ds_read_b128 a[44:47], v2 offset:2624                      // 000000004B94: DBFE0A40 2C000002
	s_add_u32 s24, s58, s24                                    // 000000004B9C: 8018183A
	s_addc_u32 s25, 0, s25                                     // 000000004BA0: 82191980
	v_mfma_f32_16x16x32_fp8_fp8 v[128:131], a[128:129], a[104:105], v[128:131]// 000000004BA4: D3F30080 1E02D180
	s_add_u32 s20, s57, s20                                    // 000000004BAC: 80141439
	s_addc_u32 s21, 0, s21                                     // 000000004BB0: 82151580
	v_mfma_f32_16x16x32_fp8_fp8 v[128:131], a[130:131], a[106:107], v[128:131]// 000000004BB4: D3F30080 1E02D582
	s_add_u32 s84, s83, s84                                    // 000000004BBC: 80545453
	s_addc_u32 s85, 0, s85                                     // 000000004BC0: 82555580
	v_mfma_f32_16x16x32_fp8_fp8 v[128:131], a[132:133], a[108:109], v[128:131]// 000000004BC4: D3F30080 1E02D984
	v_mfma_f32_16x16x32_fp8_fp8 v[128:131], a[134:135], a[110:111], v[128:131]// 000000004BCC: D3F30080 1E02DD86
	ds_read_b128 a[48:51], v2 offset:3072                      // 000000004BD4: DBFE0C00 30000002
	ds_read_b128 a[52:55], v2 offset:3136                      // 000000004BDC: DBFE0C40 34000002
	s_addk_i32 s80, 0x80                                       // 000000004BE4: B7500080
	s_cmp_lt_i32 s80, s81                                      // 000000004BE8: BF045150
	s_cbranch_scc0 label_087D                                  // 000000004BEC: BF840001
	s_branch label_032A                                        // 000000004BF0: BF82FAAD

0000000000004bf4 <label_087D>:
	v_mul_f32_dpp v76, v24, v76 row_newbcast:0 row_mask:0xf bank_mask:0xf// 000000004BF4: 0A9898FA FF015018
	v_mul_f32_dpp v77, v24, v77 row_newbcast:1 row_mask:0xf bank_mask:0xf// 000000004BFC: 0A9A9AFA FF015118
	v_mul_f32_dpp v78, v24, v78 row_newbcast:2 row_mask:0xf bank_mask:0xf// 000000004C04: 0A9C9CFA FF015218
	v_mul_f32_dpp v79, v24, v79 row_newbcast:3 row_mask:0xf bank_mask:0xf// 000000004C0C: 0A9E9EFA FF015318
	v_mul_f32_dpp v80, v24, v80 row_newbcast:0 row_mask:0xf bank_mask:0xf// 000000004C14: 0AA0A0FA FF015018
	v_mul_f32_dpp v81, v24, v81 row_newbcast:1 row_mask:0xf bank_mask:0xf// 000000004C1C: 0AA2A2FA FF015118
	v_mul_f32_dpp v82, v24, v82 row_newbcast:2 row_mask:0xf bank_mask:0xf// 000000004C24: 0AA4A4FA FF015218
	v_mul_f32_dpp v83, v24, v83 row_newbcast:3 row_mask:0xf bank_mask:0xf// 000000004C2C: 0AA6A6FA FF015318
	v_mul_f32_dpp v84, v24, v84 row_newbcast:0 row_mask:0xf bank_mask:0xf// 000000004C34: 0AA8A8FA FF015018
	v_mul_f32_dpp v85, v24, v85 row_newbcast:1 row_mask:0xf bank_mask:0xf// 000000004C3C: 0AAAAAFA FF015118
	v_mul_f32_dpp v86, v24, v86 row_newbcast:2 row_mask:0xf bank_mask:0xf// 000000004C44: 0AACACFA FF015218
	v_mul_f32_dpp v87, v24, v87 row_newbcast:3 row_mask:0xf bank_mask:0xf// 000000004C4C: 0AAEAEFA FF015318
	v_mul_f32_dpp v88, v24, v88 row_newbcast:0 row_mask:0xf bank_mask:0xf// 000000004C54: 0AB0B0FA FF015018
	v_mul_f32_dpp v89, v24, v89 row_newbcast:1 row_mask:0xf bank_mask:0xf// 000000004C5C: 0AB2B2FA FF015118
	v_mul_f32_dpp v90, v24, v90 row_newbcast:2 row_mask:0xf bank_mask:0xf// 000000004C64: 0AB4B4FA FF015218
	v_mul_f32_dpp v91, v24, v91 row_newbcast:3 row_mask:0xf bank_mask:0xf// 000000004C6C: 0AB6B6FA FF015318
	v_mul_f32_dpp v92, v24, v92 row_newbcast:0 row_mask:0xf bank_mask:0xf// 000000004C74: 0AB8B8FA FF015018
	v_mul_f32_dpp v93, v24, v93 row_newbcast:1 row_mask:0xf bank_mask:0xf// 000000004C7C: 0ABABAFA FF015118
	v_mul_f32_dpp v94, v24, v94 row_newbcast:2 row_mask:0xf bank_mask:0xf// 000000004C84: 0ABCBCFA FF015218
	v_mul_f32_dpp v95, v24, v95 row_newbcast:3 row_mask:0xf bank_mask:0xf// 000000004C8C: 0ABEBEFA FF015318
	v_mul_f32_dpp v96, v24, v96 row_newbcast:0 row_mask:0xf bank_mask:0xf// 000000004C94: 0AC0C0FA FF015018
	v_mul_f32_dpp v97, v24, v97 row_newbcast:1 row_mask:0xf bank_mask:0xf// 000000004C9C: 0AC2C2FA FF015118
	v_mul_f32_dpp v98, v24, v98 row_newbcast:2 row_mask:0xf bank_mask:0xf// 000000004CA4: 0AC4C4FA FF015218
	v_mul_f32_dpp v99, v24, v99 row_newbcast:3 row_mask:0xf bank_mask:0xf// 000000004CAC: 0AC6C6FA FF015318
	v_mul_f32_dpp v100, v24, v100 row_newbcast:0 row_mask:0xf bank_mask:0xf// 000000004CB4: 0AC8C8FA FF015018
	v_mul_f32_dpp v101, v24, v101 row_newbcast:1 row_mask:0xf bank_mask:0xf// 000000004CBC: 0ACACAFA FF015118
	v_mul_f32_dpp v102, v24, v102 row_newbcast:2 row_mask:0xf bank_mask:0xf// 000000004CC4: 0ACCCCFA FF015218
	v_mul_f32_dpp v103, v24, v103 row_newbcast:3 row_mask:0xf bank_mask:0xf// 000000004CCC: 0ACECEFA FF015318
	v_mul_f32_dpp v104, v27, v104 row_newbcast:0 row_mask:0xf bank_mask:0xf// 000000004CD4: 0AD0D0FA FF01501B
	v_mul_f32_dpp v105, v27, v105 row_newbcast:1 row_mask:0xf bank_mask:0xf// 000000004CDC: 0AD2D2FA FF01511B
	v_mul_f32_dpp v106, v27, v106 row_newbcast:2 row_mask:0xf bank_mask:0xf// 000000004CE4: 0AD4D4FA FF01521B
	v_mul_f32_dpp v107, v27, v107 row_newbcast:3 row_mask:0xf bank_mask:0xf// 000000004CEC: 0AD6D6FA FF01531B
	v_mul_f32_dpp v108, v27, v108 row_newbcast:0 row_mask:0xf bank_mask:0xf// 000000004CF4: 0AD8D8FA FF01501B
	v_mul_f32_dpp v109, v27, v109 row_newbcast:1 row_mask:0xf bank_mask:0xf// 000000004CFC: 0ADADAFA FF01511B
	v_mul_f32_dpp v110, v27, v110 row_newbcast:2 row_mask:0xf bank_mask:0xf// 000000004D04: 0ADCDCFA FF01521B
	v_mul_f32_dpp v111, v27, v111 row_newbcast:3 row_mask:0xf bank_mask:0xf// 000000004D0C: 0ADEDEFA FF01531B
	v_mul_f32_dpp v112, v27, v112 row_newbcast:0 row_mask:0xf bank_mask:0xf// 000000004D14: 0AE0E0FA FF01501B
	v_mul_f32_dpp v113, v27, v113 row_newbcast:1 row_mask:0xf bank_mask:0xf// 000000004D1C: 0AE2E2FA FF01511B
	v_mul_f32_dpp v114, v27, v114 row_newbcast:2 row_mask:0xf bank_mask:0xf// 000000004D24: 0AE4E4FA FF01521B
	v_mul_f32_dpp v115, v27, v115 row_newbcast:3 row_mask:0xf bank_mask:0xf// 000000004D2C: 0AE6E6FA FF01531B
	v_mul_f32_dpp v116, v27, v116 row_newbcast:0 row_mask:0xf bank_mask:0xf// 000000004D34: 0AE8E8FA FF01501B
	v_mul_f32_dpp v117, v27, v117 row_newbcast:1 row_mask:0xf bank_mask:0xf// 000000004D3C: 0AEAEAFA FF01511B
	v_mul_f32_dpp v118, v27, v118 row_newbcast:2 row_mask:0xf bank_mask:0xf// 000000004D44: 0AECECFA FF01521B
	v_mul_f32_dpp v119, v27, v119 row_newbcast:3 row_mask:0xf bank_mask:0xf// 000000004D4C: 0AEEEEFA FF01531B
	v_mul_f32_dpp v120, v27, v120 row_newbcast:0 row_mask:0xf bank_mask:0xf// 000000004D54: 0AF0F0FA FF01501B
	v_mul_f32_dpp v121, v27, v121 row_newbcast:1 row_mask:0xf bank_mask:0xf// 000000004D5C: 0AF2F2FA FF01511B
	v_mul_f32_dpp v122, v27, v122 row_newbcast:2 row_mask:0xf bank_mask:0xf// 000000004D64: 0AF4F4FA FF01521B
	v_mul_f32_dpp v123, v27, v123 row_newbcast:3 row_mask:0xf bank_mask:0xf// 000000004D6C: 0AF6F6FA FF01531B
	v_mul_f32_dpp v124, v27, v124 row_newbcast:0 row_mask:0xf bank_mask:0xf// 000000004D74: 0AF8F8FA FF01501B
	v_mul_f32_dpp v125, v27, v125 row_newbcast:1 row_mask:0xf bank_mask:0xf// 000000004D7C: 0AFAFAFA FF01511B
	v_mul_f32_dpp v126, v27, v126 row_newbcast:2 row_mask:0xf bank_mask:0xf// 000000004D84: 0AFCFCFA FF01521B
	v_mul_f32_dpp v127, v27, v127 row_newbcast:3 row_mask:0xf bank_mask:0xf// 000000004D8C: 0AFEFEFA FF01531B
	v_mul_f32_dpp v128, v27, v128 row_newbcast:0 row_mask:0xf bank_mask:0xf// 000000004D94: 0B0100FA FF01501B
	v_mul_f32_dpp v129, v27, v129 row_newbcast:1 row_mask:0xf bank_mask:0xf// 000000004D9C: 0B0302FA FF01511B
	v_mul_f32_dpp v130, v27, v130 row_newbcast:2 row_mask:0xf bank_mask:0xf// 000000004DA4: 0B0504FA FF01521B
	v_mul_f32_dpp v131, v27, v131 row_newbcast:3 row_mask:0xf bank_mask:0xf// 000000004DAC: 0B0706FA FF01531B
	v_mul_f32_e32 v37, v37, v132                               // 000000004DB4: 0A4B0925
	v_mov_b32_e32 v4, v37                                      // 000000004DB8: 7E080325
	v_mov_b32_e32 v5, v4                                       // 000000004DBC: 7E0A0304
	v_pk_mul_f32 v[76:77], v[4:5], v[76:77]                    // 000000004DC0: D3B1404C 18029904
	v_pk_mul_f32 v[104:105], v[4:5], v[104:105]                // 000000004DC8: D3B14068 1802D104
	v_pk_mul_f32 v[78:79], v[4:5], v[78:79]                    // 000000004DD0: D3B1404E 18029D04
	v_pk_mul_f32 v[106:107], v[4:5], v[106:107]                // 000000004DD8: D3B1406A 1802D504
	v_mul_f32_e32 v38, v38, v133                               // 000000004DE0: 0A4D0B26
	v_mov_b32_e32 v4, v38                                      // 000000004DE4: 7E080326
	v_mov_b32_e32 v5, v4                                       // 000000004DE8: 7E0A0304
	v_pk_mul_f32 v[80:81], v[4:5], v[80:81]                    // 000000004DEC: D3B14050 1802A104
	v_pk_mul_f32 v[108:109], v[4:5], v[108:109]                // 000000004DF4: D3B1406C 1802D904
	v_pk_mul_f32 v[82:83], v[4:5], v[82:83]                    // 000000004DFC: D3B14052 1802A504
	v_pk_mul_f32 v[110:111], v[4:5], v[110:111]                // 000000004E04: D3B1406E 1802DD04
	v_mul_f32_e32 v39, v39, v134                               // 000000004E0C: 0A4F0D27
	v_mov_b32_e32 v4, v39                                      // 000000004E10: 7E080327
	v_mov_b32_e32 v5, v4                                       // 000000004E14: 7E0A0304
	v_pk_mul_f32 v[84:85], v[4:5], v[84:85]                    // 000000004E18: D3B14054 1802A904
	v_pk_mul_f32 v[112:113], v[4:5], v[112:113]                // 000000004E20: D3B14070 1802E104
	v_pk_mul_f32 v[86:87], v[4:5], v[86:87]                    // 000000004E28: D3B14056 1802AD04
	v_pk_mul_f32 v[114:115], v[4:5], v[114:115]                // 000000004E30: D3B14072 1802E504
	v_mul_f32_e32 v40, v40, v135                               // 000000004E38: 0A510F28
	v_mov_b32_e32 v4, v40                                      // 000000004E3C: 7E080328
	v_mov_b32_e32 v5, v4                                       // 000000004E40: 7E0A0304
	v_pk_mul_f32 v[88:89], v[4:5], v[88:89]                    // 000000004E44: D3B14058 1802B104
	v_pk_mul_f32 v[116:117], v[4:5], v[116:117]                // 000000004E4C: D3B14074 1802E904
	v_pk_mul_f32 v[90:91], v[4:5], v[90:91]                    // 000000004E54: D3B1405A 1802B504
	v_pk_mul_f32 v[118:119], v[4:5], v[118:119]                // 000000004E5C: D3B14076 1802ED04
	v_mul_f32_e32 v41, v41, v136                               // 000000004E64: 0A531129
	v_mov_b32_e32 v4, v41                                      // 000000004E68: 7E080329
	v_mov_b32_e32 v5, v4                                       // 000000004E6C: 7E0A0304
	v_pk_mul_f32 v[92:93], v[4:5], v[92:93]                    // 000000004E70: D3B1405C 1802B904
	v_pk_mul_f32 v[120:121], v[4:5], v[120:121]                // 000000004E78: D3B14078 1802F104
	v_pk_mul_f32 v[94:95], v[4:5], v[94:95]                    // 000000004E80: D3B1405E 1802BD04
	v_pk_mul_f32 v[122:123], v[4:5], v[122:123]                // 000000004E88: D3B1407A 1802F504
	v_mul_f32_e32 v42, v42, v137                               // 000000004E90: 0A55132A
	v_mov_b32_e32 v4, v42                                      // 000000004E94: 7E08032A
	v_mov_b32_e32 v5, v4                                       // 000000004E98: 7E0A0304
	v_pk_mul_f32 v[96:97], v[4:5], v[96:97]                    // 000000004E9C: D3B14060 1802C104
	v_pk_mul_f32 v[124:125], v[4:5], v[124:125]                // 000000004EA4: D3B1407C 1802F904
	v_pk_mul_f32 v[98:99], v[4:5], v[98:99]                    // 000000004EAC: D3B14062 1802C504
	v_pk_mul_f32 v[126:127], v[4:5], v[126:127]                // 000000004EB4: D3B1407E 1802FD04
	v_mul_f32_e32 v43, v43, v138                               // 000000004EBC: 0A57152B
	v_mov_b32_e32 v4, v43                                      // 000000004EC0: 7E08032B
	v_mov_b32_e32 v5, v4                                       // 000000004EC4: 7E0A0304
	v_pk_mul_f32 v[100:101], v[4:5], v[100:101]                // 000000004EC8: D3B14064 1802C904
	v_pk_mul_f32 v[128:129], v[4:5], v[128:129]                // 000000004ED0: D3B14080 18030104
	v_pk_mul_f32 v[102:103], v[4:5], v[102:103]                // 000000004ED8: D3B14066 1802CD04
	v_pk_mul_f32 v[130:131], v[4:5], v[130:131]                // 000000004EE0: D3B14082 18030504
	s_cmp_eq_u32 s88, 0                                        // 000000004EE8: BF068058
	s_cbranch_scc0 label_0E73                                  // 000000004EEC: BF840537
	s_cmp_eq_u32 s89, 0                                        // 000000004EF0: BF068059
	s_cbranch_scc1 label_0A5B                                  // 000000004EF4: BF85011D
	v_mov_b32_e32 v8, v1                                       // 000000004EF8: 7E100301
	v_mov_b32_e32 v9, v1                                       // 000000004EFC: 7E120301
	s_mov_b32 s60, s6                                          // 000000004F00: BEBC0006
	s_mov_b32 s61, s6                                          // 000000004F04: BEBD0006
	v_pk_mul_f32 v[4:5], v[76:77], v[76:77]                    // 000000004F08: D3B14004 1802994C
	v_pk_mul_f32 v[6:7], v[78:79], v[78:79]                    // 000000004F10: D3B14006 18029D4E
	v_pk_fma_f32 v[4:5], v[4:5], s[78:79], v[8:9]              // 000000004F18: D3B04004 1C209D04
	v_pk_fma_f32 v[6:7], v[6:7], s[78:79], v[8:9]              // 000000004F20: D3B04006 1C209D06
	v_pk_mul_f32 v[4:5], v[4:5], v[76:77]                      // 000000004F28: D3B14004 18029904
	v_pk_mul_f32 v[6:7], v[6:7], v[78:79]                      // 000000004F30: D3B14006 18029D06
	v_pk_mul_f32 v[4:5], v[4:5], s[60:61]                      // 000000004F38: D3B14004 18007904
	v_pk_mul_f32 v[6:7], v[6:7], s[60:61]                      // 000000004F40: D3B14006 18007906
	v_exp_f32_e32 v4, v4                                       // 000000004F48: 7E084104
	v_exp_f32_e32 v5, v5                                       // 000000004F4C: 7E0A4105
	v_exp_f32_e32 v6, v6                                       // 000000004F50: 7E0C4106
	v_exp_f32_e32 v7, v7                                       // 000000004F54: 7E0E4107
	v_add_f32_e64 v4, v4, 1.0                                  // 000000004F58: D1010004 0001E504
	v_add_f32_e64 v5, v5, 1.0                                  // 000000004F60: D1010005 0001E505
	v_add_f32_e64 v6, v6, 1.0                                  // 000000004F68: D1010006 0001E506
	v_add_f32_e64 v7, v7, 1.0                                  // 000000004F70: D1010007 0001E507
	v_rcp_f32_e32 v4, v4                                       // 000000004F78: 7E084504
	v_rcp_f32_e32 v5, v5                                       // 000000004F7C: 7E0A4505
	v_rcp_f32_e32 v6, v6                                       // 000000004F80: 7E0C4506
	v_rcp_f32_e32 v7, v7                                       // 000000004F84: 7E0E4507
	v_mul_f32_e32 v76, v76, v4                                 // 000000004F88: 0A98094C
	v_mul_f32_e32 v77, v77, v5                                 // 000000004F8C: 0A9A0B4D
	v_mul_f32_e32 v78, v78, v6                                 // 000000004F90: 0A9C0D4E
	v_mul_f32_e32 v79, v79, v7                                 // 000000004F94: 0A9E0F4F
	v_mul_f32_e32 v76, v76, v104                               // 000000004F98: 0A98D14C
	v_mul_f32_e32 v77, v77, v105                               // 000000004F9C: 0A9AD34D
	v_mul_f32_e32 v78, v78, v106                               // 000000004FA0: 0A9CD54E
	v_mul_f32_e32 v79, v79, v107                               // 000000004FA4: 0A9ED74F
	v_pk_mul_f32 v[4:5], v[80:81], v[80:81]                    // 000000004FA8: D3B14004 1802A150
	v_pk_mul_f32 v[6:7], v[82:83], v[82:83]                    // 000000004FB0: D3B14006 1802A552
	v_pk_fma_f32 v[4:5], v[4:5], s[78:79], v[8:9]              // 000000004FB8: D3B04004 1C209D04
	v_pk_fma_f32 v[6:7], v[6:7], s[78:79], v[8:9]              // 000000004FC0: D3B04006 1C209D06
	v_pk_mul_f32 v[4:5], v[4:5], v[80:81]                      // 000000004FC8: D3B14004 1802A104
	v_pk_mul_f32 v[6:7], v[6:7], v[82:83]                      // 000000004FD0: D3B14006 1802A506
	v_pk_mul_f32 v[4:5], v[4:5], s[60:61]                      // 000000004FD8: D3B14004 18007904
	v_pk_mul_f32 v[6:7], v[6:7], s[60:61]                      // 000000004FE0: D3B14006 18007906
	v_exp_f32_e32 v4, v4                                       // 000000004FE8: 7E084104
	v_exp_f32_e32 v5, v5                                       // 000000004FEC: 7E0A4105
	v_exp_f32_e32 v6, v6                                       // 000000004FF0: 7E0C4106
	v_exp_f32_e32 v7, v7                                       // 000000004FF4: 7E0E4107
	v_add_f32_e64 v4, v4, 1.0                                  // 000000004FF8: D1010004 0001E504
	v_add_f32_e64 v5, v5, 1.0                                  // 000000005000: D1010005 0001E505
	v_add_f32_e64 v6, v6, 1.0                                  // 000000005008: D1010006 0001E506
	v_add_f32_e64 v7, v7, 1.0                                  // 000000005010: D1010007 0001E507
	v_rcp_f32_e32 v4, v4                                       // 000000005018: 7E084504
	v_rcp_f32_e32 v5, v5                                       // 00000000501C: 7E0A4505
	v_rcp_f32_e32 v6, v6                                       // 000000005020: 7E0C4506
	v_rcp_f32_e32 v7, v7                                       // 000000005024: 7E0E4507
	v_mul_f32_e32 v80, v80, v4                                 // 000000005028: 0AA00950
	v_mul_f32_e32 v81, v81, v5                                 // 00000000502C: 0AA20B51
	v_mul_f32_e32 v82, v82, v6                                 // 000000005030: 0AA40D52
	v_mul_f32_e32 v83, v83, v7                                 // 000000005034: 0AA60F53
	v_mul_f32_e32 v80, v80, v108                               // 000000005038: 0AA0D950
	v_mul_f32_e32 v81, v81, v109                               // 00000000503C: 0AA2DB51
	v_mul_f32_e32 v82, v82, v110                               // 000000005040: 0AA4DD52
	v_mul_f32_e32 v83, v83, v111                               // 000000005044: 0AA6DF53
	v_pk_mul_f32 v[4:5], v[84:85], v[84:85]                    // 000000005048: D3B14004 1802A954
	v_pk_mul_f32 v[6:7], v[86:87], v[86:87]                    // 000000005050: D3B14006 1802AD56
	v_pk_fma_f32 v[4:5], v[4:5], s[78:79], v[8:9]              // 000000005058: D3B04004 1C209D04
	v_pk_fma_f32 v[6:7], v[6:7], s[78:79], v[8:9]              // 000000005060: D3B04006 1C209D06
	v_pk_mul_f32 v[4:5], v[4:5], v[84:85]                      // 000000005068: D3B14004 1802A904
	v_pk_mul_f32 v[6:7], v[6:7], v[86:87]                      // 000000005070: D3B14006 1802AD06
	v_pk_mul_f32 v[4:5], v[4:5], s[60:61]                      // 000000005078: D3B14004 18007904
	v_pk_mul_f32 v[6:7], v[6:7], s[60:61]                      // 000000005080: D3B14006 18007906
	v_exp_f32_e32 v4, v4                                       // 000000005088: 7E084104
	v_exp_f32_e32 v5, v5                                       // 00000000508C: 7E0A4105
	v_exp_f32_e32 v6, v6                                       // 000000005090: 7E0C4106
	v_exp_f32_e32 v7, v7                                       // 000000005094: 7E0E4107
	v_add_f32_e64 v4, v4, 1.0                                  // 000000005098: D1010004 0001E504
	v_add_f32_e64 v5, v5, 1.0                                  // 0000000050A0: D1010005 0001E505
	v_add_f32_e64 v6, v6, 1.0                                  // 0000000050A8: D1010006 0001E506
	v_add_f32_e64 v7, v7, 1.0                                  // 0000000050B0: D1010007 0001E507
	v_rcp_f32_e32 v4, v4                                       // 0000000050B8: 7E084504
	v_rcp_f32_e32 v5, v5                                       // 0000000050BC: 7E0A4505
	v_rcp_f32_e32 v6, v6                                       // 0000000050C0: 7E0C4506
	v_rcp_f32_e32 v7, v7                                       // 0000000050C4: 7E0E4507
	v_mul_f32_e32 v84, v84, v4                                 // 0000000050C8: 0AA80954
	v_mul_f32_e32 v85, v85, v5                                 // 0000000050CC: 0AAA0B55
	v_mul_f32_e32 v86, v86, v6                                 // 0000000050D0: 0AAC0D56
	v_mul_f32_e32 v87, v87, v7                                 // 0000000050D4: 0AAE0F57
	v_mul_f32_e32 v84, v84, v112                               // 0000000050D8: 0AA8E154
	v_mul_f32_e32 v85, v85, v113                               // 0000000050DC: 0AAAE355
	v_mul_f32_e32 v86, v86, v114                               // 0000000050E0: 0AACE556
	v_mul_f32_e32 v87, v87, v115                               // 0000000050E4: 0AAEE757
	v_pk_mul_f32 v[4:5], v[88:89], v[88:89]                    // 0000000050E8: D3B14004 1802B158
	v_pk_mul_f32 v[6:7], v[90:91], v[90:91]                    // 0000000050F0: D3B14006 1802B55A
	v_pk_fma_f32 v[4:5], v[4:5], s[78:79], v[8:9]              // 0000000050F8: D3B04004 1C209D04
	v_pk_fma_f32 v[6:7], v[6:7], s[78:79], v[8:9]              // 000000005100: D3B04006 1C209D06
	v_pk_mul_f32 v[4:5], v[4:5], v[88:89]                      // 000000005108: D3B14004 1802B104
	v_pk_mul_f32 v[6:7], v[6:7], v[90:91]                      // 000000005110: D3B14006 1802B506
	v_pk_mul_f32 v[4:5], v[4:5], s[60:61]                      // 000000005118: D3B14004 18007904
	v_pk_mul_f32 v[6:7], v[6:7], s[60:61]                      // 000000005120: D3B14006 18007906
	v_exp_f32_e32 v4, v4                                       // 000000005128: 7E084104
	v_exp_f32_e32 v5, v5                                       // 00000000512C: 7E0A4105
	v_exp_f32_e32 v6, v6                                       // 000000005130: 7E0C4106
	v_exp_f32_e32 v7, v7                                       // 000000005134: 7E0E4107
	v_add_f32_e64 v4, v4, 1.0                                  // 000000005138: D1010004 0001E504
	v_add_f32_e64 v5, v5, 1.0                                  // 000000005140: D1010005 0001E505
	v_add_f32_e64 v6, v6, 1.0                                  // 000000005148: D1010006 0001E506
	v_add_f32_e64 v7, v7, 1.0                                  // 000000005150: D1010007 0001E507
	v_rcp_f32_e32 v4, v4                                       // 000000005158: 7E084504
	v_rcp_f32_e32 v5, v5                                       // 00000000515C: 7E0A4505
	v_rcp_f32_e32 v6, v6                                       // 000000005160: 7E0C4506
	v_rcp_f32_e32 v7, v7                                       // 000000005164: 7E0E4507
	v_mul_f32_e32 v88, v88, v4                                 // 000000005168: 0AB00958
	v_mul_f32_e32 v89, v89, v5                                 // 00000000516C: 0AB20B59
	v_mul_f32_e32 v90, v90, v6                                 // 000000005170: 0AB40D5A
	v_mul_f32_e32 v91, v91, v7                                 // 000000005174: 0AB60F5B
	v_mul_f32_e32 v88, v88, v116                               // 000000005178: 0AB0E958
	v_mul_f32_e32 v89, v89, v117                               // 00000000517C: 0AB2EB59
	v_mul_f32_e32 v90, v90, v118                               // 000000005180: 0AB4ED5A
	v_mul_f32_e32 v91, v91, v119                               // 000000005184: 0AB6EF5B
	v_pk_mul_f32 v[4:5], v[92:93], v[92:93]                    // 000000005188: D3B14004 1802B95C
	v_pk_mul_f32 v[6:7], v[94:95], v[94:95]                    // 000000005190: D3B14006 1802BD5E
	v_pk_fma_f32 v[4:5], v[4:5], s[78:79], v[8:9]              // 000000005198: D3B04004 1C209D04
	v_pk_fma_f32 v[6:7], v[6:7], s[78:79], v[8:9]              // 0000000051A0: D3B04006 1C209D06
	v_pk_mul_f32 v[4:5], v[4:5], v[92:93]                      // 0000000051A8: D3B14004 1802B904
	v_pk_mul_f32 v[6:7], v[6:7], v[94:95]                      // 0000000051B0: D3B14006 1802BD06
	v_pk_mul_f32 v[4:5], v[4:5], s[60:61]                      // 0000000051B8: D3B14004 18007904
	v_pk_mul_f32 v[6:7], v[6:7], s[60:61]                      // 0000000051C0: D3B14006 18007906
	v_exp_f32_e32 v4, v4                                       // 0000000051C8: 7E084104
	v_exp_f32_e32 v5, v5                                       // 0000000051CC: 7E0A4105
	v_exp_f32_e32 v6, v6                                       // 0000000051D0: 7E0C4106
	v_exp_f32_e32 v7, v7                                       // 0000000051D4: 7E0E4107
	v_add_f32_e64 v4, v4, 1.0                                  // 0000000051D8: D1010004 0001E504
	v_add_f32_e64 v5, v5, 1.0                                  // 0000000051E0: D1010005 0001E505
	v_add_f32_e64 v6, v6, 1.0                                  // 0000000051E8: D1010006 0001E506
	v_add_f32_e64 v7, v7, 1.0                                  // 0000000051F0: D1010007 0001E507
	v_rcp_f32_e32 v4, v4                                       // 0000000051F8: 7E084504
	v_rcp_f32_e32 v5, v5                                       // 0000000051FC: 7E0A4505
	v_rcp_f32_e32 v6, v6                                       // 000000005200: 7E0C4506
	v_rcp_f32_e32 v7, v7                                       // 000000005204: 7E0E4507
	v_mul_f32_e32 v92, v92, v4                                 // 000000005208: 0AB8095C
	v_mul_f32_e32 v93, v93, v5                                 // 00000000520C: 0ABA0B5D
	v_mul_f32_e32 v94, v94, v6                                 // 000000005210: 0ABC0D5E
	v_mul_f32_e32 v95, v95, v7                                 // 000000005214: 0ABE0F5F
	v_mul_f32_e32 v92, v92, v120                               // 000000005218: 0AB8F15C
	v_mul_f32_e32 v93, v93, v121                               // 00000000521C: 0ABAF35D
	v_mul_f32_e32 v94, v94, v122                               // 000000005220: 0ABCF55E
	v_mul_f32_e32 v95, v95, v123                               // 000000005224: 0ABEF75F
	v_pk_mul_f32 v[4:5], v[96:97], v[96:97]                    // 000000005228: D3B14004 1802C160
	v_pk_mul_f32 v[6:7], v[98:99], v[98:99]                    // 000000005230: D3B14006 1802C562
	v_pk_fma_f32 v[4:5], v[4:5], s[78:79], v[8:9]              // 000000005238: D3B04004 1C209D04
	v_pk_fma_f32 v[6:7], v[6:7], s[78:79], v[8:9]              // 000000005240: D3B04006 1C209D06
	v_pk_mul_f32 v[4:5], v[4:5], v[96:97]                      // 000000005248: D3B14004 1802C104
	v_pk_mul_f32 v[6:7], v[6:7], v[98:99]                      // 000000005250: D3B14006 1802C506
	v_pk_mul_f32 v[4:5], v[4:5], s[60:61]                      // 000000005258: D3B14004 18007904
	v_pk_mul_f32 v[6:7], v[6:7], s[60:61]                      // 000000005260: D3B14006 18007906
	v_exp_f32_e32 v4, v4                                       // 000000005268: 7E084104
	v_exp_f32_e32 v5, v5                                       // 00000000526C: 7E0A4105
	v_exp_f32_e32 v6, v6                                       // 000000005270: 7E0C4106
	v_exp_f32_e32 v7, v7                                       // 000000005274: 7E0E4107
	v_add_f32_e64 v4, v4, 1.0                                  // 000000005278: D1010004 0001E504
	v_add_f32_e64 v5, v5, 1.0                                  // 000000005280: D1010005 0001E505
	v_add_f32_e64 v6, v6, 1.0                                  // 000000005288: D1010006 0001E506
	v_add_f32_e64 v7, v7, 1.0                                  // 000000005290: D1010007 0001E507
	v_rcp_f32_e32 v4, v4                                       // 000000005298: 7E084504
	v_rcp_f32_e32 v5, v5                                       // 00000000529C: 7E0A4505
	v_rcp_f32_e32 v6, v6                                       // 0000000052A0: 7E0C4506
	v_rcp_f32_e32 v7, v7                                       // 0000000052A4: 7E0E4507
	v_mul_f32_e32 v96, v96, v4                                 // 0000000052A8: 0AC00960
	v_mul_f32_e32 v97, v97, v5                                 // 0000000052AC: 0AC20B61
	v_mul_f32_e32 v98, v98, v6                                 // 0000000052B0: 0AC40D62
	v_mul_f32_e32 v99, v99, v7                                 // 0000000052B4: 0AC60F63
	v_mul_f32_e32 v96, v96, v124                               // 0000000052B8: 0AC0F960
	v_mul_f32_e32 v97, v97, v125                               // 0000000052BC: 0AC2FB61
	v_mul_f32_e32 v98, v98, v126                               // 0000000052C0: 0AC4FD62
	v_mul_f32_e32 v99, v99, v127                               // 0000000052C4: 0AC6FF63
	v_pk_mul_f32 v[4:5], v[100:101], v[100:101]                // 0000000052C8: D3B14004 1802C964
	v_pk_mul_f32 v[6:7], v[102:103], v[102:103]                // 0000000052D0: D3B14006 1802CD66
	v_pk_fma_f32 v[4:5], v[4:5], s[78:79], v[8:9]              // 0000000052D8: D3B04004 1C209D04
	v_pk_fma_f32 v[6:7], v[6:7], s[78:79], v[8:9]              // 0000000052E0: D3B04006 1C209D06
	v_pk_mul_f32 v[4:5], v[4:5], v[100:101]                    // 0000000052E8: D3B14004 1802C904
	v_pk_mul_f32 v[6:7], v[6:7], v[102:103]                    // 0000000052F0: D3B14006 1802CD06
	v_pk_mul_f32 v[4:5], v[4:5], s[60:61]                      // 0000000052F8: D3B14004 18007904
	v_pk_mul_f32 v[6:7], v[6:7], s[60:61]                      // 000000005300: D3B14006 18007906
	v_exp_f32_e32 v4, v4                                       // 000000005308: 7E084104
	v_exp_f32_e32 v5, v5                                       // 00000000530C: 7E0A4105
	v_exp_f32_e32 v6, v6                                       // 000000005310: 7E0C4106
	v_exp_f32_e32 v7, v7                                       // 000000005314: 7E0E4107
	v_add_f32_e64 v4, v4, 1.0                                  // 000000005318: D1010004 0001E504
	v_add_f32_e64 v5, v5, 1.0                                  // 000000005320: D1010005 0001E505
	v_add_f32_e64 v6, v6, 1.0                                  // 000000005328: D1010006 0001E506
	v_add_f32_e64 v7, v7, 1.0                                  // 000000005330: D1010007 0001E507
	v_rcp_f32_e32 v4, v4                                       // 000000005338: 7E084504
	v_rcp_f32_e32 v5, v5                                       // 00000000533C: 7E0A4505
	v_rcp_f32_e32 v6, v6                                       // 000000005340: 7E0C4506
	v_rcp_f32_e32 v7, v7                                       // 000000005344: 7E0E4507
	v_mul_f32_e32 v100, v100, v4                               // 000000005348: 0AC80964
	v_mul_f32_e32 v101, v101, v5                               // 00000000534C: 0ACA0B65
	v_mul_f32_e32 v102, v102, v6                               // 000000005350: 0ACC0D66
	v_mul_f32_e32 v103, v103, v7                               // 000000005354: 0ACE0F67
	v_mul_f32_e32 v100, v100, v128                             // 000000005358: 0AC90164
	v_mul_f32_e32 v101, v101, v129                             // 00000000535C: 0ACB0365
	v_mul_f32_e32 v102, v102, v130                             // 000000005360: 0ACD0566
	v_mul_f32_e32 v103, v103, v131                             // 000000005364: 0ACF0767
	s_branch label_0B3B                                        // 000000005368: BF8200E0

000000000000536c <label_0A5B>:
	v_mul_f32_e64 v4, -v76, s6                                 // 00000000536C: D1050004 20000D4C
	v_mul_f32_e64 v5, -v77, s6                                 // 000000005374: D1050005 20000D4D
	v_mul_f32_e64 v6, -v78, s6                                 // 00000000537C: D1050006 20000D4E
	v_mul_f32_e64 v7, -v79, s6                                 // 000000005384: D1050007 20000D4F
	v_exp_f32_e32 v4, v4                                       // 00000000538C: 7E084104
	v_exp_f32_e32 v5, v5                                       // 000000005390: 7E0A4105
	v_exp_f32_e32 v6, v6                                       // 000000005394: 7E0C4106
	v_exp_f32_e32 v7, v7                                       // 000000005398: 7E0E4107
	v_add_f32_e64 v4, v4, 1.0                                  // 00000000539C: D1010004 0001E504
	v_add_f32_e64 v5, v5, 1.0                                  // 0000000053A4: D1010005 0001E505
	v_add_f32_e64 v6, v6, 1.0                                  // 0000000053AC: D1010006 0001E506
	v_add_f32_e64 v7, v7, 1.0                                  // 0000000053B4: D1010007 0001E507
	v_rcp_f32_e32 v4, v4                                       // 0000000053BC: 7E084504
	v_rcp_f32_e32 v5, v5                                       // 0000000053C0: 7E0A4505
	v_rcp_f32_e32 v6, v6                                       // 0000000053C4: 7E0C4506
	v_rcp_f32_e32 v7, v7                                       // 0000000053C8: 7E0E4507
	v_mul_f32_e32 v76, v76, v4                                 // 0000000053CC: 0A98094C
	v_mul_f32_e32 v77, v77, v5                                 // 0000000053D0: 0A9A0B4D
	v_mul_f32_e32 v78, v78, v6                                 // 0000000053D4: 0A9C0D4E
	v_mul_f32_e32 v79, v79, v7                                 // 0000000053D8: 0A9E0F4F
	v_mul_f32_e32 v76, v76, v104                               // 0000000053DC: 0A98D14C
	v_mul_f32_e32 v77, v77, v105                               // 0000000053E0: 0A9AD34D
	v_mul_f32_e32 v78, v78, v106                               // 0000000053E4: 0A9CD54E
	v_mul_f32_e32 v79, v79, v107                               // 0000000053E8: 0A9ED74F
	v_mul_f32_e64 v4, -v80, s6                                 // 0000000053EC: D1050004 20000D50
	v_mul_f32_e64 v5, -v81, s6                                 // 0000000053F4: D1050005 20000D51
	v_mul_f32_e64 v6, -v82, s6                                 // 0000000053FC: D1050006 20000D52
	v_mul_f32_e64 v7, -v83, s6                                 // 000000005404: D1050007 20000D53
	v_exp_f32_e32 v4, v4                                       // 00000000540C: 7E084104
	v_exp_f32_e32 v5, v5                                       // 000000005410: 7E0A4105
	v_exp_f32_e32 v6, v6                                       // 000000005414: 7E0C4106
	v_exp_f32_e32 v7, v7                                       // 000000005418: 7E0E4107
	v_add_f32_e64 v4, v4, 1.0                                  // 00000000541C: D1010004 0001E504
	v_add_f32_e64 v5, v5, 1.0                                  // 000000005424: D1010005 0001E505
	v_add_f32_e64 v6, v6, 1.0                                  // 00000000542C: D1010006 0001E506
	v_add_f32_e64 v7, v7, 1.0                                  // 000000005434: D1010007 0001E507
	v_rcp_f32_e32 v4, v4                                       // 00000000543C: 7E084504
	v_rcp_f32_e32 v5, v5                                       // 000000005440: 7E0A4505
	v_rcp_f32_e32 v6, v6                                       // 000000005444: 7E0C4506
	v_rcp_f32_e32 v7, v7                                       // 000000005448: 7E0E4507
	v_mul_f32_e32 v80, v80, v4                                 // 00000000544C: 0AA00950
	v_mul_f32_e32 v81, v81, v5                                 // 000000005450: 0AA20B51
	v_mul_f32_e32 v82, v82, v6                                 // 000000005454: 0AA40D52
	v_mul_f32_e32 v83, v83, v7                                 // 000000005458: 0AA60F53
	v_mul_f32_e32 v80, v80, v108                               // 00000000545C: 0AA0D950
	v_mul_f32_e32 v81, v81, v109                               // 000000005460: 0AA2DB51
	v_mul_f32_e32 v82, v82, v110                               // 000000005464: 0AA4DD52
	v_mul_f32_e32 v83, v83, v111                               // 000000005468: 0AA6DF53
	v_mul_f32_e64 v4, -v84, s6                                 // 00000000546C: D1050004 20000D54
	v_mul_f32_e64 v5, -v85, s6                                 // 000000005474: D1050005 20000D55
	v_mul_f32_e64 v6, -v86, s6                                 // 00000000547C: D1050006 20000D56
	v_mul_f32_e64 v7, -v87, s6                                 // 000000005484: D1050007 20000D57
	v_exp_f32_e32 v4, v4                                       // 00000000548C: 7E084104
	v_exp_f32_e32 v5, v5                                       // 000000005490: 7E0A4105
	v_exp_f32_e32 v6, v6                                       // 000000005494: 7E0C4106
	v_exp_f32_e32 v7, v7                                       // 000000005498: 7E0E4107
	v_add_f32_e64 v4, v4, 1.0                                  // 00000000549C: D1010004 0001E504
	v_add_f32_e64 v5, v5, 1.0                                  // 0000000054A4: D1010005 0001E505
	v_add_f32_e64 v6, v6, 1.0                                  // 0000000054AC: D1010006 0001E506
	v_add_f32_e64 v7, v7, 1.0                                  // 0000000054B4: D1010007 0001E507
	v_rcp_f32_e32 v4, v4                                       // 0000000054BC: 7E084504
	v_rcp_f32_e32 v5, v5                                       // 0000000054C0: 7E0A4505
	v_rcp_f32_e32 v6, v6                                       // 0000000054C4: 7E0C4506
	v_rcp_f32_e32 v7, v7                                       // 0000000054C8: 7E0E4507
	v_mul_f32_e32 v84, v84, v4                                 // 0000000054CC: 0AA80954
	v_mul_f32_e32 v85, v85, v5                                 // 0000000054D0: 0AAA0B55
	v_mul_f32_e32 v86, v86, v6                                 // 0000000054D4: 0AAC0D56
	v_mul_f32_e32 v87, v87, v7                                 // 0000000054D8: 0AAE0F57
	v_mul_f32_e32 v84, v84, v112                               // 0000000054DC: 0AA8E154
	v_mul_f32_e32 v85, v85, v113                               // 0000000054E0: 0AAAE355
	v_mul_f32_e32 v86, v86, v114                               // 0000000054E4: 0AACE556
	v_mul_f32_e32 v87, v87, v115                               // 0000000054E8: 0AAEE757
	v_mul_f32_e64 v4, -v88, s6                                 // 0000000054EC: D1050004 20000D58
	v_mul_f32_e64 v5, -v89, s6                                 // 0000000054F4: D1050005 20000D59
	v_mul_f32_e64 v6, -v90, s6                                 // 0000000054FC: D1050006 20000D5A
	v_mul_f32_e64 v7, -v91, s6                                 // 000000005504: D1050007 20000D5B
	v_exp_f32_e32 v4, v4                                       // 00000000550C: 7E084104
	v_exp_f32_e32 v5, v5                                       // 000000005510: 7E0A4105
	v_exp_f32_e32 v6, v6                                       // 000000005514: 7E0C4106
	v_exp_f32_e32 v7, v7                                       // 000000005518: 7E0E4107
	v_add_f32_e64 v4, v4, 1.0                                  // 00000000551C: D1010004 0001E504
	v_add_f32_e64 v5, v5, 1.0                                  // 000000005524: D1010005 0001E505
	v_add_f32_e64 v6, v6, 1.0                                  // 00000000552C: D1010006 0001E506
	v_add_f32_e64 v7, v7, 1.0                                  // 000000005534: D1010007 0001E507
	v_rcp_f32_e32 v4, v4                                       // 00000000553C: 7E084504
	v_rcp_f32_e32 v5, v5                                       // 000000005540: 7E0A4505
	v_rcp_f32_e32 v6, v6                                       // 000000005544: 7E0C4506
	v_rcp_f32_e32 v7, v7                                       // 000000005548: 7E0E4507
	v_mul_f32_e32 v88, v88, v4                                 // 00000000554C: 0AB00958
	v_mul_f32_e32 v89, v89, v5                                 // 000000005550: 0AB20B59
	v_mul_f32_e32 v90, v90, v6                                 // 000000005554: 0AB40D5A
	v_mul_f32_e32 v91, v91, v7                                 // 000000005558: 0AB60F5B
	v_mul_f32_e32 v88, v88, v116                               // 00000000555C: 0AB0E958
	v_mul_f32_e32 v89, v89, v117                               // 000000005560: 0AB2EB59
	v_mul_f32_e32 v90, v90, v118                               // 000000005564: 0AB4ED5A
	v_mul_f32_e32 v91, v91, v119                               // 000000005568: 0AB6EF5B
	v_mul_f32_e64 v4, -v92, s6                                 // 00000000556C: D1050004 20000D5C
	v_mul_f32_e64 v5, -v93, s6                                 // 000000005574: D1050005 20000D5D
	v_mul_f32_e64 v6, -v94, s6                                 // 00000000557C: D1050006 20000D5E
	v_mul_f32_e64 v7, -v95, s6                                 // 000000005584: D1050007 20000D5F
	v_exp_f32_e32 v4, v4                                       // 00000000558C: 7E084104
	v_exp_f32_e32 v5, v5                                       // 000000005590: 7E0A4105
	v_exp_f32_e32 v6, v6                                       // 000000005594: 7E0C4106
	v_exp_f32_e32 v7, v7                                       // 000000005598: 7E0E4107
	v_add_f32_e64 v4, v4, 1.0                                  // 00000000559C: D1010004 0001E504
	v_add_f32_e64 v5, v5, 1.0                                  // 0000000055A4: D1010005 0001E505
	v_add_f32_e64 v6, v6, 1.0                                  // 0000000055AC: D1010006 0001E506
	v_add_f32_e64 v7, v7, 1.0                                  // 0000000055B4: D1010007 0001E507
	v_rcp_f32_e32 v4, v4                                       // 0000000055BC: 7E084504
	v_rcp_f32_e32 v5, v5                                       // 0000000055C0: 7E0A4505
	v_rcp_f32_e32 v6, v6                                       // 0000000055C4: 7E0C4506
	v_rcp_f32_e32 v7, v7                                       // 0000000055C8: 7E0E4507
	v_mul_f32_e32 v92, v92, v4                                 // 0000000055CC: 0AB8095C
	v_mul_f32_e32 v93, v93, v5                                 // 0000000055D0: 0ABA0B5D
	v_mul_f32_e32 v94, v94, v6                                 // 0000000055D4: 0ABC0D5E
	v_mul_f32_e32 v95, v95, v7                                 // 0000000055D8: 0ABE0F5F
	v_mul_f32_e32 v92, v92, v120                               // 0000000055DC: 0AB8F15C
	v_mul_f32_e32 v93, v93, v121                               // 0000000055E0: 0ABAF35D
	v_mul_f32_e32 v94, v94, v122                               // 0000000055E4: 0ABCF55E
	v_mul_f32_e32 v95, v95, v123                               // 0000000055E8: 0ABEF75F
	v_mul_f32_e64 v4, -v96, s6                                 // 0000000055EC: D1050004 20000D60
	v_mul_f32_e64 v5, -v97, s6                                 // 0000000055F4: D1050005 20000D61
	v_mul_f32_e64 v6, -v98, s6                                 // 0000000055FC: D1050006 20000D62
	v_mul_f32_e64 v7, -v99, s6                                 // 000000005604: D1050007 20000D63
	v_exp_f32_e32 v4, v4                                       // 00000000560C: 7E084104
	v_exp_f32_e32 v5, v5                                       // 000000005610: 7E0A4105
	v_exp_f32_e32 v6, v6                                       // 000000005614: 7E0C4106
	v_exp_f32_e32 v7, v7                                       // 000000005618: 7E0E4107
	v_add_f32_e64 v4, v4, 1.0                                  // 00000000561C: D1010004 0001E504
	v_add_f32_e64 v5, v5, 1.0                                  // 000000005624: D1010005 0001E505
	v_add_f32_e64 v6, v6, 1.0                                  // 00000000562C: D1010006 0001E506
	v_add_f32_e64 v7, v7, 1.0                                  // 000000005634: D1010007 0001E507
	v_rcp_f32_e32 v4, v4                                       // 00000000563C: 7E084504
	v_rcp_f32_e32 v5, v5                                       // 000000005640: 7E0A4505
	v_rcp_f32_e32 v6, v6                                       // 000000005644: 7E0C4506
	v_rcp_f32_e32 v7, v7                                       // 000000005648: 7E0E4507
	v_mul_f32_e32 v96, v96, v4                                 // 00000000564C: 0AC00960
	v_mul_f32_e32 v97, v97, v5                                 // 000000005650: 0AC20B61
	v_mul_f32_e32 v98, v98, v6                                 // 000000005654: 0AC40D62
	v_mul_f32_e32 v99, v99, v7                                 // 000000005658: 0AC60F63
	v_mul_f32_e32 v96, v96, v124                               // 00000000565C: 0AC0F960
	v_mul_f32_e32 v97, v97, v125                               // 000000005660: 0AC2FB61
	v_mul_f32_e32 v98, v98, v126                               // 000000005664: 0AC4FD62
	v_mul_f32_e32 v99, v99, v127                               // 000000005668: 0AC6FF63
	v_mul_f32_e64 v4, -v100, s6                                // 00000000566C: D1050004 20000D64
	v_mul_f32_e64 v5, -v101, s6                                // 000000005674: D1050005 20000D65
	v_mul_f32_e64 v6, -v102, s6                                // 00000000567C: D1050006 20000D66
	v_mul_f32_e64 v7, -v103, s6                                // 000000005684: D1050007 20000D67
	v_exp_f32_e32 v4, v4                                       // 00000000568C: 7E084104
	v_exp_f32_e32 v5, v5                                       // 000000005690: 7E0A4105
	v_exp_f32_e32 v6, v6                                       // 000000005694: 7E0C4106
	v_exp_f32_e32 v7, v7                                       // 000000005698: 7E0E4107
	v_add_f32_e64 v4, v4, 1.0                                  // 00000000569C: D1010004 0001E504
	v_add_f32_e64 v5, v5, 1.0                                  // 0000000056A4: D1010005 0001E505
	v_add_f32_e64 v6, v6, 1.0                                  // 0000000056AC: D1010006 0001E506
	v_add_f32_e64 v7, v7, 1.0                                  // 0000000056B4: D1010007 0001E507
	v_rcp_f32_e32 v4, v4                                       // 0000000056BC: 7E084504
	v_rcp_f32_e32 v5, v5                                       // 0000000056C0: 7E0A4505
	v_rcp_f32_e32 v6, v6                                       // 0000000056C4: 7E0C4506
	v_rcp_f32_e32 v7, v7                                       // 0000000056C8: 7E0E4507
	v_mul_f32_e32 v100, v100, v4                               // 0000000056CC: 0AC80964
	v_mul_f32_e32 v101, v101, v5                               // 0000000056D0: 0ACA0B65
	v_mul_f32_e32 v102, v102, v6                               // 0000000056D4: 0ACC0D66
	v_mul_f32_e32 v103, v103, v7                               // 0000000056D8: 0ACE0F67
	v_mul_f32_e32 v100, v100, v128                             // 0000000056DC: 0AC90164
	v_mul_f32_e32 v101, v101, v129                             // 0000000056E0: 0ACB0365
	v_mul_f32_e32 v102, v102, v130                             // 0000000056E4: 0ACD0566
	v_mul_f32_e32 v103, v103, v131                             // 0000000056E8: 0ACF0767

00000000000056ec <label_0B3B>:
	v_cmp_u_f32_e64 s[46:47], v76, v76                         // 0000000056EC: D048002E 0002994C
	v_add3_u32 v16, v76, v19, 1                                // 0000000056F4: D1FF0010 0206274C
	v_cndmask_b32_e64 v4, v16, v18, s[46:47]                   // 0000000056FC: D1000004 00BA2510
	v_cmp_u_f32_e64 s[46:47], v77, v77                         // 000000005704: D048002E 00029B4D
	v_add3_u32 v16, v77, v19, 1                                // 00000000570C: D1FF0010 0206274D
	v_cndmask_b32_e64 v5, v16, v18, s[46:47]                   // 000000005714: D1000005 00BA2510
	v_perm_b32 v76, v5, v4, s52                                // 00000000571C: D1ED004C 00D20905
	v_cmp_u_f32_e64 s[46:47], v78, v78                         // 000000005724: D048002E 00029D4E
	v_add3_u32 v16, v78, v19, 1                                // 00000000572C: D1FF0010 0206274E
	v_cndmask_b32_e64 v4, v16, v18, s[46:47]                   // 000000005734: D1000004 00BA2510
	v_cmp_u_f32_e64 s[46:47], v79, v79                         // 00000000573C: D048002E 00029F4F
	v_add3_u32 v16, v79, v19, 1                                // 000000005744: D1FF0010 0206274F
	v_cndmask_b32_e64 v5, v16, v18, s[46:47]                   // 00000000574C: D1000005 00BA2510
	v_perm_b32 v77, v5, v4, s52                                // 000000005754: D1ED004D 00D20905
	v_cmp_u_f32_e64 s[46:47], v80, v80                         // 00000000575C: D048002E 0002A150
	v_add3_u32 v16, v80, v19, 1                                // 000000005764: D1FF0010 02062750
	v_cndmask_b32_e64 v4, v16, v18, s[46:47]                   // 00000000576C: D1000004 00BA2510
	v_cmp_u_f32_e64 s[46:47], v81, v81                         // 000000005774: D048002E 0002A351
	v_add3_u32 v16, v81, v19, 1                                // 00000000577C: D1FF0010 02062751
	v_cndmask_b32_e64 v5, v16, v18, s[46:47]                   // 000000005784: D1000005 00BA2510
	v_perm_b32 v78, v5, v4, s52                                // 00000000578C: D1ED004E 00D20905
	v_cmp_u_f32_e64 s[46:47], v82, v82                         // 000000005794: D048002E 0002A552
	v_add3_u32 v16, v82, v19, 1                                // 00000000579C: D1FF0010 02062752
	v_cndmask_b32_e64 v4, v16, v18, s[46:47]                   // 0000000057A4: D1000004 00BA2510
	v_cmp_u_f32_e64 s[46:47], v83, v83                         // 0000000057AC: D048002E 0002A753
	v_add3_u32 v16, v83, v19, 1                                // 0000000057B4: D1FF0010 02062753
	v_cndmask_b32_e64 v5, v16, v18, s[46:47]                   // 0000000057BC: D1000005 00BA2510
	v_perm_b32 v79, v5, v4, s52                                // 0000000057C4: D1ED004F 00D20905
	v_cmp_u_f32_e64 s[46:47], v84, v84                         // 0000000057CC: D048002E 0002A954
	v_add3_u32 v16, v84, v19, 1                                // 0000000057D4: D1FF0010 02062754
	v_cndmask_b32_e64 v4, v16, v18, s[46:47]                   // 0000000057DC: D1000004 00BA2510
	v_cmp_u_f32_e64 s[46:47], v85, v85                         // 0000000057E4: D048002E 0002AB55
	v_add3_u32 v16, v85, v19, 1                                // 0000000057EC: D1FF0010 02062755
	v_cndmask_b32_e64 v5, v16, v18, s[46:47]                   // 0000000057F4: D1000005 00BA2510
	v_perm_b32 v80, v5, v4, s52                                // 0000000057FC: D1ED0050 00D20905
	v_cmp_u_f32_e64 s[46:47], v86, v86                         // 000000005804: D048002E 0002AD56
	v_add3_u32 v16, v86, v19, 1                                // 00000000580C: D1FF0010 02062756
	v_cndmask_b32_e64 v4, v16, v18, s[46:47]                   // 000000005814: D1000004 00BA2510
	v_cmp_u_f32_e64 s[46:47], v87, v87                         // 00000000581C: D048002E 0002AF57
	v_add3_u32 v16, v87, v19, 1                                // 000000005824: D1FF0010 02062757
	v_cndmask_b32_e64 v5, v16, v18, s[46:47]                   // 00000000582C: D1000005 00BA2510
	v_perm_b32 v81, v5, v4, s52                                // 000000005834: D1ED0051 00D20905
	v_cmp_u_f32_e64 s[46:47], v88, v88                         // 00000000583C: D048002E 0002B158
	v_add3_u32 v16, v88, v19, 1                                // 000000005844: D1FF0010 02062758
	v_cndmask_b32_e64 v4, v16, v18, s[46:47]                   // 00000000584C: D1000004 00BA2510
	v_cmp_u_f32_e64 s[46:47], v89, v89                         // 000000005854: D048002E 0002B359
	v_add3_u32 v16, v89, v19, 1                                // 00000000585C: D1FF0010 02062759
	v_cndmask_b32_e64 v5, v16, v18, s[46:47]                   // 000000005864: D1000005 00BA2510
	v_perm_b32 v82, v5, v4, s52                                // 00000000586C: D1ED0052 00D20905
	v_cmp_u_f32_e64 s[46:47], v90, v90                         // 000000005874: D048002E 0002B55A
	v_add3_u32 v16, v90, v19, 1                                // 00000000587C: D1FF0010 0206275A
	v_cndmask_b32_e64 v4, v16, v18, s[46:47]                   // 000000005884: D1000004 00BA2510
	v_cmp_u_f32_e64 s[46:47], v91, v91                         // 00000000588C: D048002E 0002B75B
	v_add3_u32 v16, v91, v19, 1                                // 000000005894: D1FF0010 0206275B
	v_cndmask_b32_e64 v5, v16, v18, s[46:47]                   // 00000000589C: D1000005 00BA2510
	v_perm_b32 v83, v5, v4, s52                                // 0000000058A4: D1ED0053 00D20905
	v_cmp_u_f32_e64 s[46:47], v92, v92                         // 0000000058AC: D048002E 0002B95C
	v_add3_u32 v16, v92, v19, 1                                // 0000000058B4: D1FF0010 0206275C
	v_cndmask_b32_e64 v4, v16, v18, s[46:47]                   // 0000000058BC: D1000004 00BA2510
	v_cmp_u_f32_e64 s[46:47], v93, v93                         // 0000000058C4: D048002E 0002BB5D
	v_add3_u32 v16, v93, v19, 1                                // 0000000058CC: D1FF0010 0206275D
	v_cndmask_b32_e64 v5, v16, v18, s[46:47]                   // 0000000058D4: D1000005 00BA2510
	v_perm_b32 v84, v5, v4, s52                                // 0000000058DC: D1ED0054 00D20905
	v_cmp_u_f32_e64 s[46:47], v94, v94                         // 0000000058E4: D048002E 0002BD5E
	v_add3_u32 v16, v94, v19, 1                                // 0000000058EC: D1FF0010 0206275E
	v_cndmask_b32_e64 v4, v16, v18, s[46:47]                   // 0000000058F4: D1000004 00BA2510
	v_cmp_u_f32_e64 s[46:47], v95, v95                         // 0000000058FC: D048002E 0002BF5F
	v_add3_u32 v16, v95, v19, 1                                // 000000005904: D1FF0010 0206275F
	v_cndmask_b32_e64 v5, v16, v18, s[46:47]                   // 00000000590C: D1000005 00BA2510
	v_perm_b32 v85, v5, v4, s52                                // 000000005914: D1ED0055 00D20905
	v_cmp_u_f32_e64 s[46:47], v96, v96                         // 00000000591C: D048002E 0002C160
	v_add3_u32 v16, v96, v19, 1                                // 000000005924: D1FF0010 02062760
	v_cndmask_b32_e64 v4, v16, v18, s[46:47]                   // 00000000592C: D1000004 00BA2510
	v_cmp_u_f32_e64 s[46:47], v97, v97                         // 000000005934: D048002E 0002C361
	v_add3_u32 v16, v97, v19, 1                                // 00000000593C: D1FF0010 02062761
	v_cndmask_b32_e64 v5, v16, v18, s[46:47]                   // 000000005944: D1000005 00BA2510
	v_perm_b32 v86, v5, v4, s52                                // 00000000594C: D1ED0056 00D20905
	v_cmp_u_f32_e64 s[46:47], v98, v98                         // 000000005954: D048002E 0002C562
	v_add3_u32 v16, v98, v19, 1                                // 00000000595C: D1FF0010 02062762
	v_cndmask_b32_e64 v4, v16, v18, s[46:47]                   // 000000005964: D1000004 00BA2510
	v_cmp_u_f32_e64 s[46:47], v99, v99                         // 00000000596C: D048002E 0002C763
	v_add3_u32 v16, v99, v19, 1                                // 000000005974: D1FF0010 02062763
	v_cndmask_b32_e64 v5, v16, v18, s[46:47]                   // 00000000597C: D1000005 00BA2510
	v_perm_b32 v87, v5, v4, s52                                // 000000005984: D1ED0057 00D20905
	v_cmp_u_f32_e64 s[46:47], v100, v100                       // 00000000598C: D048002E 0002C964
	v_add3_u32 v16, v100, v19, 1                               // 000000005994: D1FF0010 02062764
	v_cndmask_b32_e64 v4, v16, v18, s[46:47]                   // 00000000599C: D1000004 00BA2510
	v_cmp_u_f32_e64 s[46:47], v101, v101                       // 0000000059A4: D048002E 0002CB65
	v_add3_u32 v16, v101, v19, 1                               // 0000000059AC: D1FF0010 02062765
	v_cndmask_b32_e64 v5, v16, v18, s[46:47]                   // 0000000059B4: D1000005 00BA2510
	v_perm_b32 v88, v5, v4, s52                                // 0000000059BC: D1ED0058 00D20905
	v_cmp_u_f32_e64 s[46:47], v102, v102                       // 0000000059C4: D048002E 0002CD66
	v_add3_u32 v16, v102, v19, 1                               // 0000000059CC: D1FF0010 02062766
	v_cndmask_b32_e64 v4, v16, v18, s[46:47]                   // 0000000059D4: D1000004 00BA2510
	v_cmp_u_f32_e64 s[46:47], v103, v103                       // 0000000059DC: D048002E 0002CF67
	v_add3_u32 v16, v103, v19, 1                               // 0000000059E4: D1FF0010 02062767
	v_cndmask_b32_e64 v5, v16, v18, s[46:47]                   // 0000000059EC: D1000005 00BA2510
	v_perm_b32 v89, v5, v4, s52                                // 0000000059F4: D1ED0059 00D20905
	ds_write_b64 v20, v[76:77]                                 // 0000000059FC: D89A0000 00004C14
	ds_write_b64 v20, v[78:79] offset:2176                     // 000000005A04: D89A0880 00004E14
	ds_write_b64 v20, v[80:81] offset:4352                     // 000000005A0C: D89A1100 00005014
	ds_write_b64 v20, v[82:83] offset:6528                     // 000000005A14: D89A1980 00005214
	ds_write_b64 v20, v[84:85] offset:8704                     // 000000005A1C: D89A2200 00005414
	ds_write_b64 v20, v[86:87] offset:10880                    // 000000005A24: D89A2A80 00005614
	ds_write_b64 v20, v[88:89] offset:13056                    // 000000005A2C: D89A3300 00005814
	v_lshrrev_b32_e32 v4, 5, v0                                // 000000005A34: 20080085
	v_xor_b32_e32 v5, 1, v4                                    // 000000005A38: 2A0A0881
	s_mul_i32 s60, s65, 2                                      // 000000005A3C: 923C8241
	s_cmp_eq_u32 s88, 0                                        // 000000005A40: BF068058
	s_cselect_b32 s61, 1, 4                                    // 000000005A44: 853D8481
	s_mul_i32 s60, s61, s60                                    // 000000005A48: 923C3C3D
	v_readlane_b32 s82, v3, 0                                  // 000000005A4C: D2890052 00010103
	s_lshr_b32 s61, s82, 24                                    // 000000005A54: 8F3D9852
	s_and_b32 s82, s82, 0xffffff                               // 000000005A58: 8652FF52 00FFFFFF
	s_mul_i32 s82, s82, s71                                    // 000000005A60: 92524752
	s_mul_i32 s61, s60, s61                                    // 000000005A64: 923D3D3C
	s_add_u32 s82, s82, s61                                    // 000000005A68: 80523D52
	v_mul_lo_u32 v6, v5, s82                                   // 000000005A6C: D2850006 0000A505
	v_readlane_b32 s82, v3, 1                                  // 000000005A74: D2890052 00010303
	s_lshr_b32 s61, s82, 24                                    // 000000005A7C: 8F3D9852
	s_and_b32 s82, s82, 0xffffff                               // 000000005A80: 8652FF52 00FFFFFF
	s_mul_i32 s82, s82, s71                                    // 000000005A88: 92524752
	s_mul_i32 s61, s60, s61                                    // 000000005A8C: 923D3D3C
	s_add_u32 s82, s82, s61                                    // 000000005A90: 80523D52
	v_mul_lo_u32 v7, v4, s82                                   // 000000005A94: D2850007 0000A504
	v_add_u32_e32 v58, v6, v7                                  // 000000005A9C: 68740F06
	v_readlane_b32 s82, v3, 2                                  // 000000005AA0: D2890052 00010503
	s_lshr_b32 s61, s82, 24                                    // 000000005AA8: 8F3D9852
	s_and_b32 s82, s82, 0xffffff                               // 000000005AAC: 8652FF52 00FFFFFF
	s_mul_i32 s82, s82, s71                                    // 000000005AB4: 92524752
	s_mul_i32 s61, s60, s61                                    // 000000005AB8: 923D3D3C
	s_add_u32 s82, s82, s61                                    // 000000005ABC: 80523D52
	v_mul_lo_u32 v6, v5, s82                                   // 000000005AC0: D2850006 0000A505
	v_readlane_b32 s82, v3, 3                                  // 000000005AC8: D2890052 00010703
	s_lshr_b32 s61, s82, 24                                    // 000000005AD0: 8F3D9852
	s_and_b32 s82, s82, 0xffffff                               // 000000005AD4: 8652FF52 00FFFFFF
	s_mul_i32 s82, s82, s71                                    // 000000005ADC: 92524752
	s_mul_i32 s61, s60, s61                                    // 000000005AE0: 923D3D3C
	s_add_u32 s82, s82, s61                                    // 000000005AE4: 80523D52
	v_mul_lo_u32 v7, v4, s82                                   // 000000005AE8: D2850007 0000A504
	v_add_u32_e32 v59, v6, v7                                  // 000000005AF0: 68760F06
	v_readlane_b32 s82, v3, 4                                  // 000000005AF4: D2890052 00010903
	s_lshr_b32 s61, s82, 24                                    // 000000005AFC: 8F3D9852
	s_and_b32 s82, s82, 0xffffff                               // 000000005B00: 8652FF52 00FFFFFF
	s_mul_i32 s82, s82, s71                                    // 000000005B08: 92524752
	s_mul_i32 s61, s60, s61                                    // 000000005B0C: 923D3D3C
	s_add_u32 s82, s82, s61                                    // 000000005B10: 80523D52
	v_mul_lo_u32 v6, v5, s82                                   // 000000005B14: D2850006 0000A505
	v_readlane_b32 s82, v3, 5                                  // 000000005B1C: D2890052 00010B03
	s_lshr_b32 s61, s82, 24                                    // 000000005B24: 8F3D9852
	s_and_b32 s82, s82, 0xffffff                               // 000000005B28: 8652FF52 00FFFFFF
	s_mul_i32 s82, s82, s71                                    // 000000005B30: 92524752
	s_mul_i32 s61, s60, s61                                    // 000000005B34: 923D3D3C
	s_add_u32 s82, s82, s61                                    // 000000005B38: 80523D52
	v_mul_lo_u32 v7, v4, s82                                   // 000000005B3C: D2850007 0000A504
	v_add_u32_e32 v60, v6, v7                                  // 000000005B44: 68780F06
	v_readlane_b32 s82, v3, 6                                  // 000000005B48: D2890052 00010D03
	s_lshr_b32 s61, s82, 24                                    // 000000005B50: 8F3D9852
	s_and_b32 s82, s82, 0xffffff                               // 000000005B54: 8652FF52 00FFFFFF
	s_mul_i32 s82, s82, s71                                    // 000000005B5C: 92524752
	s_mul_i32 s61, s60, s61                                    // 000000005B60: 923D3D3C
	s_add_u32 s82, s82, s61                                    // 000000005B64: 80523D52
	v_mul_lo_u32 v6, v5, s82                                   // 000000005B68: D2850006 0000A505
	v_readlane_b32 s82, v3, 7                                  // 000000005B70: D2890052 00010F03
	s_lshr_b32 s61, s82, 24                                    // 000000005B78: 8F3D9852
	s_and_b32 s82, s82, 0xffffff                               // 000000005B7C: 8652FF52 00FFFFFF
	s_mul_i32 s82, s82, s71                                    // 000000005B84: 92524752
	s_mul_i32 s61, s60, s61                                    // 000000005B88: 923D3D3C
	s_add_u32 s82, s82, s61                                    // 000000005B8C: 80523D52
	v_mul_lo_u32 v7, v4, s82                                   // 000000005B90: D2850007 0000A504
	v_add_u32_e32 v61, v6, v7                                  // 000000005B98: 687A0F06
	v_readlane_b32 s82, v3, 8                                  // 000000005B9C: D2890052 00011103
	s_lshr_b32 s61, s82, 24                                    // 000000005BA4: 8F3D9852
	s_and_b32 s82, s82, 0xffffff                               // 000000005BA8: 8652FF52 00FFFFFF
	s_mul_i32 s82, s82, s71                                    // 000000005BB0: 92524752
	s_mul_i32 s61, s60, s61                                    // 000000005BB4: 923D3D3C
	s_add_u32 s82, s82, s61                                    // 000000005BB8: 80523D52
	v_mul_lo_u32 v6, v5, s82                                   // 000000005BBC: D2850006 0000A505
	v_readlane_b32 s82, v3, 9                                  // 000000005BC4: D2890052 00011303
	s_lshr_b32 s61, s82, 24                                    // 000000005BCC: 8F3D9852
	s_and_b32 s82, s82, 0xffffff                               // 000000005BD0: 8652FF52 00FFFFFF
	s_mul_i32 s82, s82, s71                                    // 000000005BD8: 92524752
	s_mul_i32 s61, s60, s61                                    // 000000005BDC: 923D3D3C
	s_add_u32 s82, s82, s61                                    // 000000005BE0: 80523D52
	v_mul_lo_u32 v7, v4, s82                                   // 000000005BE4: D2850007 0000A504
	v_add_u32_e32 v62, v6, v7                                  // 000000005BEC: 687C0F06
	v_readlane_b32 s82, v3, 10                                 // 000000005BF0: D2890052 00011503
	s_lshr_b32 s61, s82, 24                                    // 000000005BF8: 8F3D9852
	s_and_b32 s82, s82, 0xffffff                               // 000000005BFC: 8652FF52 00FFFFFF
	s_mul_i32 s82, s82, s71                                    // 000000005C04: 92524752
	s_mul_i32 s61, s60, s61                                    // 000000005C08: 923D3D3C
	s_add_u32 s82, s82, s61                                    // 000000005C0C: 80523D52
	v_mul_lo_u32 v6, v5, s82                                   // 000000005C10: D2850006 0000A505
	v_readlane_b32 s82, v3, 11                                 // 000000005C18: D2890052 00011703
	s_lshr_b32 s61, s82, 24                                    // 000000005C20: 8F3D9852
	s_and_b32 s82, s82, 0xffffff                               // 000000005C24: 8652FF52 00FFFFFF
	s_mul_i32 s82, s82, s71                                    // 000000005C2C: 92524752
	s_mul_i32 s61, s60, s61                                    // 000000005C30: 923D3D3C
	s_add_u32 s82, s82, s61                                    // 000000005C34: 80523D52
	v_mul_lo_u32 v7, v4, s82                                   // 000000005C38: D2850007 0000A504
	v_add_u32_e32 v63, v6, v7                                  // 000000005C40: 687E0F06
	v_readlane_b32 s82, v3, 12                                 // 000000005C44: D2890052 00011903
	s_lshr_b32 s61, s82, 24                                    // 000000005C4C: 8F3D9852
	s_and_b32 s82, s82, 0xffffff                               // 000000005C50: 8652FF52 00FFFFFF
	s_mul_i32 s82, s82, s71                                    // 000000005C58: 92524752
	s_mul_i32 s61, s60, s61                                    // 000000005C5C: 923D3D3C
	s_add_u32 s82, s82, s61                                    // 000000005C60: 80523D52
	v_mul_lo_u32 v6, v5, s82                                   // 000000005C64: D2850006 0000A505
	v_readlane_b32 s82, v3, 13                                 // 000000005C6C: D2890052 00011B03
	s_lshr_b32 s61, s82, 24                                    // 000000005C74: 8F3D9852
	s_and_b32 s82, s82, 0xffffff                               // 000000005C78: 8652FF52 00FFFFFF
	s_mul_i32 s82, s82, s71                                    // 000000005C80: 92524752
	s_mul_i32 s61, s60, s61                                    // 000000005C84: 923D3D3C
	s_add_u32 s82, s82, s61                                    // 000000005C88: 80523D52
	v_mul_lo_u32 v7, v4, s82                                   // 000000005C8C: D2850007 0000A504
	v_add_u32_e32 v64, v6, v7                                  // 000000005C94: 68800F06
	v_readlane_b32 s82, v3, 14                                 // 000000005C98: D2890052 00011D03
	s_lshr_b32 s61, s82, 24                                    // 000000005CA0: 8F3D9852
	s_and_b32 s82, s82, 0xffffff                               // 000000005CA4: 8652FF52 00FFFFFF
	s_mul_i32 s82, s82, s71                                    // 000000005CAC: 92524752
	s_mul_i32 s61, s60, s61                                    // 000000005CB0: 923D3D3C
	s_add_u32 s82, s82, s61                                    // 000000005CB4: 80523D52
	v_mul_lo_u32 v6, v5, s82                                   // 000000005CB8: D2850006 0000A505
	v_readlane_b32 s82, v3, 15                                 // 000000005CC0: D2890052 00011F03
	s_lshr_b32 s61, s82, 24                                    // 000000005CC8: 8F3D9852
	s_and_b32 s82, s82, 0xffffff                               // 000000005CCC: 8652FF52 00FFFFFF
	s_mul_i32 s82, s82, s71                                    // 000000005CD4: 92524752
	s_mul_i32 s61, s60, s61                                    // 000000005CD8: 923D3D3C
	s_add_u32 s82, s82, s61                                    // 000000005CDC: 80523D52
	v_mul_lo_u32 v7, v4, s82                                   // 000000005CE0: D2850007 0000A504
	v_add_u32_e32 v65, v6, v7                                  // 000000005CE8: 68820F06
	v_readlane_b32 s82, v3, 16                                 // 000000005CEC: D2890052 00012103
	s_lshr_b32 s61, s82, 24                                    // 000000005CF4: 8F3D9852
	s_and_b32 s82, s82, 0xffffff                               // 000000005CF8: 8652FF52 00FFFFFF
	s_mul_i32 s82, s82, s71                                    // 000000005D00: 92524752
	s_mul_i32 s61, s60, s61                                    // 000000005D04: 923D3D3C
	s_add_u32 s82, s82, s61                                    // 000000005D08: 80523D52
	v_mul_lo_u32 v6, v5, s82                                   // 000000005D0C: D2850006 0000A505
	v_readlane_b32 s82, v3, 17                                 // 000000005D14: D2890052 00012303
	s_lshr_b32 s61, s82, 24                                    // 000000005D1C: 8F3D9852
	s_and_b32 s82, s82, 0xffffff                               // 000000005D20: 8652FF52 00FFFFFF
	s_mul_i32 s82, s82, s71                                    // 000000005D28: 92524752
	s_mul_i32 s61, s60, s61                                    // 000000005D2C: 923D3D3C
	s_add_u32 s82, s82, s61                                    // 000000005D30: 80523D52
	v_mul_lo_u32 v7, v4, s82                                   // 000000005D34: D2850007 0000A504
	v_add_u32_e32 v66, v6, v7                                  // 000000005D3C: 68840F06
	v_readlane_b32 s82, v3, 18                                 // 000000005D40: D2890052 00012503
	s_lshr_b32 s61, s82, 24                                    // 000000005D48: 8F3D9852
	s_and_b32 s82, s82, 0xffffff                               // 000000005D4C: 8652FF52 00FFFFFF
	s_mul_i32 s82, s82, s71                                    // 000000005D54: 92524752
	s_mul_i32 s61, s60, s61                                    // 000000005D58: 923D3D3C
	s_add_u32 s82, s82, s61                                    // 000000005D5C: 80523D52
	v_mul_lo_u32 v6, v5, s82                                   // 000000005D60: D2850006 0000A505
	v_readlane_b32 s82, v3, 19                                 // 000000005D68: D2890052 00012703
	s_lshr_b32 s61, s82, 24                                    // 000000005D70: 8F3D9852
	s_and_b32 s82, s82, 0xffffff                               // 000000005D74: 8652FF52 00FFFFFF
	s_mul_i32 s82, s82, s71                                    // 000000005D7C: 92524752
	s_mul_i32 s61, s60, s61                                    // 000000005D80: 923D3D3C
	s_add_u32 s82, s82, s61                                    // 000000005D84: 80523D52
	v_mul_lo_u32 v7, v4, s82                                   // 000000005D88: D2850007 0000A504
	v_add_u32_e32 v67, v6, v7                                  // 000000005D90: 68860F06
	v_readlane_b32 s82, v3, 20                                 // 000000005D94: D2890052 00012903
	s_lshr_b32 s61, s82, 24                                    // 000000005D9C: 8F3D9852
	s_and_b32 s82, s82, 0xffffff                               // 000000005DA0: 8652FF52 00FFFFFF
	s_mul_i32 s82, s82, s71                                    // 000000005DA8: 92524752
	s_mul_i32 s61, s60, s61                                    // 000000005DAC: 923D3D3C
	s_add_u32 s82, s82, s61                                    // 000000005DB0: 80523D52
	v_mul_lo_u32 v6, v5, s82                                   // 000000005DB4: D2850006 0000A505
	v_readlane_b32 s82, v3, 21                                 // 000000005DBC: D2890052 00012B03
	s_lshr_b32 s61, s82, 24                                    // 000000005DC4: 8F3D9852
	s_and_b32 s82, s82, 0xffffff                               // 000000005DC8: 8652FF52 00FFFFFF
	s_mul_i32 s82, s82, s71                                    // 000000005DD0: 92524752
	s_mul_i32 s61, s60, s61                                    // 000000005DD4: 923D3D3C
	s_add_u32 s82, s82, s61                                    // 000000005DD8: 80523D52
	v_mul_lo_u32 v7, v4, s82                                   // 000000005DDC: D2850007 0000A504
	v_add_u32_e32 v68, v6, v7                                  // 000000005DE4: 68880F06
	v_readlane_b32 s82, v3, 22                                 // 000000005DE8: D2890052 00012D03
	s_lshr_b32 s61, s82, 24                                    // 000000005DF0: 8F3D9852
	s_and_b32 s82, s82, 0xffffff                               // 000000005DF4: 8652FF52 00FFFFFF
	s_mul_i32 s82, s82, s71                                    // 000000005DFC: 92524752
	s_mul_i32 s61, s60, s61                                    // 000000005E00: 923D3D3C
	s_add_u32 s82, s82, s61                                    // 000000005E04: 80523D52
	v_mul_lo_u32 v6, v5, s82                                   // 000000005E08: D2850006 0000A505
	v_readlane_b32 s82, v3, 23                                 // 000000005E10: D2890052 00012F03
	s_lshr_b32 s61, s82, 24                                    // 000000005E18: 8F3D9852
	s_and_b32 s82, s82, 0xffffff                               // 000000005E1C: 8652FF52 00FFFFFF
	s_mul_i32 s82, s82, s71                                    // 000000005E24: 92524752
	s_mul_i32 s61, s60, s61                                    // 000000005E28: 923D3D3C
	s_add_u32 s82, s82, s61                                    // 000000005E2C: 80523D52
	v_mul_lo_u32 v7, v4, s82                                   // 000000005E30: D2850007 0000A504
	v_add_u32_e32 v69, v6, v7                                  // 000000005E38: 688A0F06
	v_readlane_b32 s82, v3, 24                                 // 000000005E3C: D2890052 00013103
	s_lshr_b32 s61, s82, 24                                    // 000000005E44: 8F3D9852
	s_and_b32 s82, s82, 0xffffff                               // 000000005E48: 8652FF52 00FFFFFF
	s_mul_i32 s82, s82, s71                                    // 000000005E50: 92524752
	s_mul_i32 s61, s60, s61                                    // 000000005E54: 923D3D3C
	s_add_u32 s82, s82, s61                                    // 000000005E58: 80523D52
	v_mul_lo_u32 v6, v5, s82                                   // 000000005E5C: D2850006 0000A505
	v_readlane_b32 s82, v3, 25                                 // 000000005E64: D2890052 00013303
	s_lshr_b32 s61, s82, 24                                    // 000000005E6C: 8F3D9852
	s_and_b32 s82, s82, 0xffffff                               // 000000005E70: 8652FF52 00FFFFFF
	s_mul_i32 s82, s82, s71                                    // 000000005E78: 92524752
	s_mul_i32 s61, s60, s61                                    // 000000005E7C: 923D3D3C
	s_add_u32 s82, s82, s61                                    // 000000005E80: 80523D52
	v_mul_lo_u32 v7, v4, s82                                   // 000000005E84: D2850007 0000A504
	v_add_u32_e32 v70, v6, v7                                  // 000000005E8C: 688C0F06
	v_readlane_b32 s82, v3, 26                                 // 000000005E90: D2890052 00013503
	s_lshr_b32 s61, s82, 24                                    // 000000005E98: 8F3D9852
	s_and_b32 s82, s82, 0xffffff                               // 000000005E9C: 8652FF52 00FFFFFF
	s_mul_i32 s82, s82, s71                                    // 000000005EA4: 92524752
	s_mul_i32 s61, s60, s61                                    // 000000005EA8: 923D3D3C
	s_add_u32 s82, s82, s61                                    // 000000005EAC: 80523D52
	v_mul_lo_u32 v6, v5, s82                                   // 000000005EB0: D2850006 0000A505
	v_readlane_b32 s82, v3, 27                                 // 000000005EB8: D2890052 00013703
	s_lshr_b32 s61, s82, 24                                    // 000000005EC0: 8F3D9852
	s_and_b32 s82, s82, 0xffffff                               // 000000005EC4: 8652FF52 00FFFFFF
	s_mul_i32 s82, s82, s71                                    // 000000005ECC: 92524752
	s_mul_i32 s61, s60, s61                                    // 000000005ED0: 923D3D3C
	s_add_u32 s82, s82, s61                                    // 000000005ED4: 80523D52
	v_mul_lo_u32 v7, v4, s82                                   // 000000005ED8: D2850007 0000A504
	v_add_u32_e32 v71, v6, v7                                  // 000000005EE0: 688E0F06
	v_and_b32_e32 v4, 31, v0                                   // 000000005EE4: 2608009F
	v_lshrrev_b32_e32 v4, 1, v4                                // 000000005EE8: 20080881
	s_cmp_eq_u32 s88, 0                                        // 000000005EEC: BF068058
	s_cselect_b32 s61, 2, 4                                    // 000000005EF0: 853D8482
	v_mul_lo_u32 v4, v4, s61                                   // 000000005EF4: D2850004 00007B04
	v_and_b32_e64 v5, v0, 1                                    // 000000005EFC: D1130005 00010300
	v_add_u32_e32 v4, v4, v5                                   // 000000005F04: 68080B04
	v_lshlrev_b32_e32 v4, 2, v4                                // 000000005F08: 24080882
	v_add_u32_e32 v58, v58, v4                                 // 000000005F0C: 6874093A
	v_add_u32_e32 v59, v59, v4                                 // 000000005F10: 6876093B
	v_add_u32_e32 v60, v60, v4                                 // 000000005F14: 6878093C
	v_add_u32_e32 v61, v61, v4                                 // 000000005F18: 687A093D
	v_add_u32_e32 v62, v62, v4                                 // 000000005F1C: 687C093E
	v_add_u32_e32 v63, v63, v4                                 // 000000005F20: 687E093F
	v_add_u32_e32 v64, v64, v4                                 // 000000005F24: 68800940
	v_add_u32_e32 v65, v65, v4                                 // 000000005F28: 68820941
	v_add_u32_e32 v66, v66, v4                                 // 000000005F2C: 68840942
	v_add_u32_e32 v67, v67, v4                                 // 000000005F30: 68860943
	v_add_u32_e32 v68, v68, v4                                 // 000000005F34: 68880944
	v_add_u32_e32 v69, v69, v4                                 // 000000005F38: 688A0945
	v_add_u32_e32 v70, v70, v4                                 // 000000005F3C: 688C0946
	v_add_u32_e32 v71, v71, v4                                 // 000000005F40: 688E0947
	s_waitcnt lgkmcnt(0)                                       // 000000005F44: BF8CC07F
	s_barrier                                                  // 000000005F48: BF8A0000
	ds_read_b32 v76, v21                                       // 000000005F4C: D86C0000 4C000015
	ds_read_b32 v77, v21 offset:64                             // 000000005F54: D86C0040 4D000015
	ds_read_b32 v78, v21 offset:2176                           // 000000005F5C: D86C0880 4E000015
	ds_read_b32 v79, v21 offset:2240                           // 000000005F64: D86C08C0 4F000015
	ds_read_b32 v80, v21 offset:4352                           // 000000005F6C: D86C1100 50000015
	ds_read_b32 v81, v21 offset:4416                           // 000000005F74: D86C1140 51000015
	ds_read_b32 v82, v21 offset:6528                           // 000000005F7C: D86C1980 52000015
	ds_read_b32 v83, v21 offset:6592                           // 000000005F84: D86C19C0 53000015
	ds_read_b32 v84, v21 offset:8704                           // 000000005F8C: D86C2200 54000015
	ds_read_b32 v85, v21 offset:8768                           // 000000005F94: D86C2240 55000015
	ds_read_b32 v86, v21 offset:10880                          // 000000005F9C: D86C2A80 56000015
	ds_read_b32 v87, v21 offset:10944                          // 000000005FA4: D86C2AC0 57000015
	ds_read_b32 v88, v21 offset:13056                          // 000000005FAC: D86C3300 58000015
	ds_read_b32 v89, v21 offset:13120                          // 000000005FB4: D86C3340 59000015
	s_waitcnt lgkmcnt(0)                                       // 000000005FBC: BF8CC07F
	s_mov_b32 s36, -1                                          // 000000005FC0: BEA400C1
	s_mov_b32 s37, -1                                          // 000000005FC4: BEA500C1
	v_mov_b32_e32 v7, 0                                        // 000000005FC8: 7E0E0280
	s_or_b32 s9, s9, 0x40000                                   // 000000005FCC: 8709FF09 00040000
	s_mov_b64 exec, s[36:37]                                   // 000000005FD4: BEFE0124
	v_mov_b32_e32 v6, v58                                      // 000000005FD8: 7E0C033A
	s_mov_b64 s[60:61], 0                                      // 000000005FDC: BEBC0180
	v_readlane_b32 s82, v3, 0                                  // 000000005FE0: D2890052 00010103
	s_and_b32 s82, s82, 0xffffff                               // 000000005FE8: 8652FF52 00FFFFFF
	s_cmp_lt_u32 s82, s66                                      // 000000005FF0: BF0A4252
	s_cselect_b32 s20, s36, s60                                // 000000005FF4: 85143C24
	v_readlane_b32 s82, v3, 1                                  // 000000005FF8: D2890052 00010303
	s_and_b32 s82, s82, 0xffffff                               // 000000006000: 8652FF52 00FFFFFF
	s_cmp_lt_u32 s82, s66                                      // 000000006008: BF0A4252
	s_cselect_b32 s21, s36, s60                                // 00000000600C: 85153C24
	s_mov_b64 exec, s[20:21]                                   // 000000006010: BEFE0114
	buffer_store_dword v76, v6, s[8:11], 0 offen               // 000000006014: E0701000 80024C06
	s_mov_b64 exec, s[36:37]                                   // 00000000601C: BEFE0124
	v_mov_b32_e32 v6, v59                                      // 000000006020: 7E0C033B
	s_mov_b64 s[60:61], 0                                      // 000000006024: BEBC0180
	v_readlane_b32 s82, v3, 2                                  // 000000006028: D2890052 00010503
	s_and_b32 s82, s82, 0xffffff                               // 000000006030: 8652FF52 00FFFFFF
	s_cmp_lt_u32 s82, s66                                      // 000000006038: BF0A4252
	s_cselect_b32 s20, s36, s60                                // 00000000603C: 85143C24
	v_readlane_b32 s82, v3, 3                                  // 000000006040: D2890052 00010703
	s_and_b32 s82, s82, 0xffffff                               // 000000006048: 8652FF52 00FFFFFF
	s_cmp_lt_u32 s82, s66                                      // 000000006050: BF0A4252
	s_cselect_b32 s21, s36, s60                                // 000000006054: 85153C24
	s_mov_b64 exec, s[20:21]                                   // 000000006058: BEFE0114
	buffer_store_dword v77, v6, s[8:11], 0 offen               // 00000000605C: E0701000 80024D06
	s_mov_b64 exec, s[36:37]                                   // 000000006064: BEFE0124
	v_mov_b32_e32 v6, v60                                      // 000000006068: 7E0C033C
	s_mov_b64 s[60:61], 0                                      // 00000000606C: BEBC0180
	v_readlane_b32 s82, v3, 4                                  // 000000006070: D2890052 00010903
	s_and_b32 s82, s82, 0xffffff                               // 000000006078: 8652FF52 00FFFFFF
	s_cmp_lt_u32 s82, s66                                      // 000000006080: BF0A4252
	s_cselect_b32 s20, s36, s60                                // 000000006084: 85143C24
	v_readlane_b32 s82, v3, 5                                  // 000000006088: D2890052 00010B03
	s_and_b32 s82, s82, 0xffffff                               // 000000006090: 8652FF52 00FFFFFF
	s_cmp_lt_u32 s82, s66                                      // 000000006098: BF0A4252
	s_cselect_b32 s21, s36, s60                                // 00000000609C: 85153C24
	s_mov_b64 exec, s[20:21]                                   // 0000000060A0: BEFE0114
	buffer_store_dword v78, v6, s[8:11], 0 offen               // 0000000060A4: E0701000 80024E06
	s_mov_b64 exec, s[36:37]                                   // 0000000060AC: BEFE0124
	v_mov_b32_e32 v6, v61                                      // 0000000060B0: 7E0C033D
	s_mov_b64 s[60:61], 0                                      // 0000000060B4: BEBC0180
	v_readlane_b32 s82, v3, 6                                  // 0000000060B8: D2890052 00010D03
	s_and_b32 s82, s82, 0xffffff                               // 0000000060C0: 8652FF52 00FFFFFF
	s_cmp_lt_u32 s82, s66                                      // 0000000060C8: BF0A4252
	s_cselect_b32 s20, s36, s60                                // 0000000060CC: 85143C24
	v_readlane_b32 s82, v3, 7                                  // 0000000060D0: D2890052 00010F03
	s_and_b32 s82, s82, 0xffffff                               // 0000000060D8: 8652FF52 00FFFFFF
	s_cmp_lt_u32 s82, s66                                      // 0000000060E0: BF0A4252
	s_cselect_b32 s21, s36, s60                                // 0000000060E4: 85153C24
	s_mov_b64 exec, s[20:21]                                   // 0000000060E8: BEFE0114
	buffer_store_dword v79, v6, s[8:11], 0 offen               // 0000000060EC: E0701000 80024F06
	s_mov_b64 exec, s[36:37]                                   // 0000000060F4: BEFE0124
	v_mov_b32_e32 v6, v62                                      // 0000000060F8: 7E0C033E
	s_mov_b64 s[60:61], 0                                      // 0000000060FC: BEBC0180
	v_readlane_b32 s82, v3, 8                                  // 000000006100: D2890052 00011103
	s_and_b32 s82, s82, 0xffffff                               // 000000006108: 8652FF52 00FFFFFF
	s_cmp_lt_u32 s82, s66                                      // 000000006110: BF0A4252
	s_cselect_b32 s20, s36, s60                                // 000000006114: 85143C24
	v_readlane_b32 s82, v3, 9                                  // 000000006118: D2890052 00011303
	s_and_b32 s82, s82, 0xffffff                               // 000000006120: 8652FF52 00FFFFFF
	s_cmp_lt_u32 s82, s66                                      // 000000006128: BF0A4252
	s_cselect_b32 s21, s36, s60                                // 00000000612C: 85153C24
	s_mov_b64 exec, s[20:21]                                   // 000000006130: BEFE0114
	buffer_store_dword v80, v6, s[8:11], 0 offen               // 000000006134: E0701000 80025006
	s_mov_b64 exec, s[36:37]                                   // 00000000613C: BEFE0124
	v_mov_b32_e32 v6, v63                                      // 000000006140: 7E0C033F
	s_mov_b64 s[60:61], 0                                      // 000000006144: BEBC0180
	v_readlane_b32 s82, v3, 10                                 // 000000006148: D2890052 00011503
	s_and_b32 s82, s82, 0xffffff                               // 000000006150: 8652FF52 00FFFFFF
	s_cmp_lt_u32 s82, s66                                      // 000000006158: BF0A4252
	s_cselect_b32 s20, s36, s60                                // 00000000615C: 85143C24
	v_readlane_b32 s82, v3, 11                                 // 000000006160: D2890052 00011703
	s_and_b32 s82, s82, 0xffffff                               // 000000006168: 8652FF52 00FFFFFF
	s_cmp_lt_u32 s82, s66                                      // 000000006170: BF0A4252
	s_cselect_b32 s21, s36, s60                                // 000000006174: 85153C24
	s_mov_b64 exec, s[20:21]                                   // 000000006178: BEFE0114
	buffer_store_dword v81, v6, s[8:11], 0 offen               // 00000000617C: E0701000 80025106
	s_mov_b64 exec, s[36:37]                                   // 000000006184: BEFE0124
	v_mov_b32_e32 v6, v64                                      // 000000006188: 7E0C0340
	s_mov_b64 s[60:61], 0                                      // 00000000618C: BEBC0180
	v_readlane_b32 s82, v3, 12                                 // 000000006190: D2890052 00011903
	s_and_b32 s82, s82, 0xffffff                               // 000000006198: 8652FF52 00FFFFFF
	s_cmp_lt_u32 s82, s66                                      // 0000000061A0: BF0A4252
	s_cselect_b32 s20, s36, s60                                // 0000000061A4: 85143C24
	v_readlane_b32 s82, v3, 13                                 // 0000000061A8: D2890052 00011B03
	s_and_b32 s82, s82, 0xffffff                               // 0000000061B0: 8652FF52 00FFFFFF
	s_cmp_lt_u32 s82, s66                                      // 0000000061B8: BF0A4252
	s_cselect_b32 s21, s36, s60                                // 0000000061BC: 85153C24
	s_mov_b64 exec, s[20:21]                                   // 0000000061C0: BEFE0114
	buffer_store_dword v82, v6, s[8:11], 0 offen               // 0000000061C4: E0701000 80025206
	s_mov_b64 exec, s[36:37]                                   // 0000000061CC: BEFE0124
	v_mov_b32_e32 v6, v65                                      // 0000000061D0: 7E0C0341
	s_mov_b64 s[60:61], 0                                      // 0000000061D4: BEBC0180
	v_readlane_b32 s82, v3, 14                                 // 0000000061D8: D2890052 00011D03
	s_and_b32 s82, s82, 0xffffff                               // 0000000061E0: 8652FF52 00FFFFFF
	s_cmp_lt_u32 s82, s66                                      // 0000000061E8: BF0A4252
	s_cselect_b32 s20, s36, s60                                // 0000000061EC: 85143C24
	v_readlane_b32 s82, v3, 15                                 // 0000000061F0: D2890052 00011F03
	s_and_b32 s82, s82, 0xffffff                               // 0000000061F8: 8652FF52 00FFFFFF
	s_cmp_lt_u32 s82, s66                                      // 000000006200: BF0A4252
	s_cselect_b32 s21, s36, s60                                // 000000006204: 85153C24
	s_mov_b64 exec, s[20:21]                                   // 000000006208: BEFE0114
	buffer_store_dword v83, v6, s[8:11], 0 offen               // 00000000620C: E0701000 80025306
	s_mov_b64 exec, s[36:37]                                   // 000000006214: BEFE0124
	v_mov_b32_e32 v6, v66                                      // 000000006218: 7E0C0342
	s_mov_b64 s[60:61], 0                                      // 00000000621C: BEBC0180
	v_readlane_b32 s82, v3, 16                                 // 000000006220: D2890052 00012103
	s_and_b32 s82, s82, 0xffffff                               // 000000006228: 8652FF52 00FFFFFF
	s_cmp_lt_u32 s82, s66                                      // 000000006230: BF0A4252
	s_cselect_b32 s20, s36, s60                                // 000000006234: 85143C24
	v_readlane_b32 s82, v3, 17                                 // 000000006238: D2890052 00012303
	s_and_b32 s82, s82, 0xffffff                               // 000000006240: 8652FF52 00FFFFFF
	s_cmp_lt_u32 s82, s66                                      // 000000006248: BF0A4252
	s_cselect_b32 s21, s36, s60                                // 00000000624C: 85153C24
	s_mov_b64 exec, s[20:21]                                   // 000000006250: BEFE0114
	buffer_store_dword v84, v6, s[8:11], 0 offen               // 000000006254: E0701000 80025406
	s_mov_b64 exec, s[36:37]                                   // 00000000625C: BEFE0124
	v_mov_b32_e32 v6, v67                                      // 000000006260: 7E0C0343
	s_mov_b64 s[60:61], 0                                      // 000000006264: BEBC0180
	v_readlane_b32 s82, v3, 18                                 // 000000006268: D2890052 00012503
	s_and_b32 s82, s82, 0xffffff                               // 000000006270: 8652FF52 00FFFFFF
	s_cmp_lt_u32 s82, s66                                      // 000000006278: BF0A4252
	s_cselect_b32 s20, s36, s60                                // 00000000627C: 85143C24
	v_readlane_b32 s82, v3, 19                                 // 000000006280: D2890052 00012703
	s_and_b32 s82, s82, 0xffffff                               // 000000006288: 8652FF52 00FFFFFF
	s_cmp_lt_u32 s82, s66                                      // 000000006290: BF0A4252
	s_cselect_b32 s21, s36, s60                                // 000000006294: 85153C24
	s_mov_b64 exec, s[20:21]                                   // 000000006298: BEFE0114
	buffer_store_dword v85, v6, s[8:11], 0 offen               // 00000000629C: E0701000 80025506
	s_mov_b64 exec, s[36:37]                                   // 0000000062A4: BEFE0124
	v_mov_b32_e32 v6, v68                                      // 0000000062A8: 7E0C0344
	s_mov_b64 s[60:61], 0                                      // 0000000062AC: BEBC0180
	v_readlane_b32 s82, v3, 20                                 // 0000000062B0: D2890052 00012903
	s_and_b32 s82, s82, 0xffffff                               // 0000000062B8: 8652FF52 00FFFFFF
	s_cmp_lt_u32 s82, s66                                      // 0000000062C0: BF0A4252
	s_cselect_b32 s20, s36, s60                                // 0000000062C4: 85143C24
	v_readlane_b32 s82, v3, 21                                 // 0000000062C8: D2890052 00012B03
	s_and_b32 s82, s82, 0xffffff                               // 0000000062D0: 8652FF52 00FFFFFF
	s_cmp_lt_u32 s82, s66                                      // 0000000062D8: BF0A4252
	s_cselect_b32 s21, s36, s60                                // 0000000062DC: 85153C24
	s_mov_b64 exec, s[20:21]                                   // 0000000062E0: BEFE0114
	buffer_store_dword v86, v6, s[8:11], 0 offen               // 0000000062E4: E0701000 80025606
	s_mov_b64 exec, s[36:37]                                   // 0000000062EC: BEFE0124
	v_mov_b32_e32 v6, v69                                      // 0000000062F0: 7E0C0345
	s_mov_b64 s[60:61], 0                                      // 0000000062F4: BEBC0180
	v_readlane_b32 s82, v3, 22                                 // 0000000062F8: D2890052 00012D03
	s_and_b32 s82, s82, 0xffffff                               // 000000006300: 8652FF52 00FFFFFF
	s_cmp_lt_u32 s82, s66                                      // 000000006308: BF0A4252
	s_cselect_b32 s20, s36, s60                                // 00000000630C: 85143C24
	v_readlane_b32 s82, v3, 23                                 // 000000006310: D2890052 00012F03
	s_and_b32 s82, s82, 0xffffff                               // 000000006318: 8652FF52 00FFFFFF
	s_cmp_lt_u32 s82, s66                                      // 000000006320: BF0A4252
	s_cselect_b32 s21, s36, s60                                // 000000006324: 85153C24
	s_mov_b64 exec, s[20:21]                                   // 000000006328: BEFE0114
	buffer_store_dword v87, v6, s[8:11], 0 offen               // 00000000632C: E0701000 80025706
	s_mov_b64 exec, s[36:37]                                   // 000000006334: BEFE0124
	v_mov_b32_e32 v6, v70                                      // 000000006338: 7E0C0346
	s_mov_b64 s[60:61], 0                                      // 00000000633C: BEBC0180
	v_readlane_b32 s82, v3, 24                                 // 000000006340: D2890052 00013103
	s_and_b32 s82, s82, 0xffffff                               // 000000006348: 8652FF52 00FFFFFF
	s_cmp_lt_u32 s82, s66                                      // 000000006350: BF0A4252
	s_cselect_b32 s20, s36, s60                                // 000000006354: 85143C24
	v_readlane_b32 s82, v3, 25                                 // 000000006358: D2890052 00013303
	s_and_b32 s82, s82, 0xffffff                               // 000000006360: 8652FF52 00FFFFFF
	s_cmp_lt_u32 s82, s66                                      // 000000006368: BF0A4252
	s_cselect_b32 s21, s36, s60                                // 00000000636C: 85153C24
	s_mov_b64 exec, s[20:21]                                   // 000000006370: BEFE0114
	buffer_store_dword v88, v6, s[8:11], 0 offen               // 000000006374: E0701000 80025806
	s_mov_b64 exec, s[36:37]                                   // 00000000637C: BEFE0124
	v_mov_b32_e32 v6, v71                                      // 000000006380: 7E0C0347
	s_mov_b64 s[60:61], 0                                      // 000000006384: BEBC0180
	v_readlane_b32 s82, v3, 26                                 // 000000006388: D2890052 00013503
	s_and_b32 s82, s82, 0xffffff                               // 000000006390: 8652FF52 00FFFFFF
	s_cmp_lt_u32 s82, s66                                      // 000000006398: BF0A4252
	s_cselect_b32 s20, s36, s60                                // 00000000639C: 85143C24
	v_readlane_b32 s82, v3, 27                                 // 0000000063A0: D2890052 00013703
	s_and_b32 s82, s82, 0xffffff                               // 0000000063A8: 8652FF52 00FFFFFF
	s_cmp_lt_u32 s82, s66                                      // 0000000063B0: BF0A4252
	s_cselect_b32 s21, s36, s60                                // 0000000063B4: 85153C24
	s_mov_b64 exec, s[20:21]                                   // 0000000063B8: BEFE0114
	buffer_store_dword v89, v6, s[8:11], 0 offen               // 0000000063BC: E0701000 80025906
	s_mov_b64 exec, s[36:37]                                   // 0000000063C4: BEFE0124
	s_branch label_25AB                                        // 0000000063C8: BF821735

00000000000063cc <label_0E73>:
	ds_write_b64 v20, v[76:77]                                 // 0000000063CC: D89A0000 00004C14
	ds_write_b64 v20, v[80:81] offset:2176                     // 0000000063D4: D89A0880 00005014
	ds_write_b64 v20, v[84:85] offset:4352                     // 0000000063DC: D89A1100 00005414
	ds_write_b64 v20, v[88:89] offset:6528                     // 0000000063E4: D89A1980 00005814
	ds_write_b64 v20, v[92:93] offset:8704                     // 0000000063EC: D89A2200 00005C14
	ds_write_b64 v20, v[96:97] offset:10880                    // 0000000063F4: D89A2A80 00006014
	ds_write_b64 v20, v[100:101] offset:13056                  // 0000000063FC: D89A3300 00006414
	v_lshrrev_b32_e32 v4, 5, v0                                // 000000006404: 20080085
	v_xor_b32_e32 v5, 1, v4                                    // 000000006408: 2A0A0881
	s_mul_i32 s60, s65, 2                                      // 00000000640C: 923C8241
	s_cmp_eq_u32 s88, 0                                        // 000000006410: BF068058
	s_cselect_b32 s61, 1, 4                                    // 000000006414: 853D8481
	s_mul_i32 s60, s61, s60                                    // 000000006418: 923C3C3D
	v_readlane_b32 s82, v3, 0                                  // 00000000641C: D2890052 00010103
	s_lshr_b32 s61, s82, 24                                    // 000000006424: 8F3D9852
	s_and_b32 s82, s82, 0xffffff                               // 000000006428: 8652FF52 00FFFFFF
	s_mul_i32 s82, s82, s71                                    // 000000006430: 92524752
	s_mul_i32 s61, s60, s61                                    // 000000006434: 923D3D3C
	s_add_u32 s82, s82, s61                                    // 000000006438: 80523D52
	v_mul_lo_u32 v6, v5, s82                                   // 00000000643C: D2850006 0000A505
	v_readlane_b32 s82, v3, 1                                  // 000000006444: D2890052 00010303
	s_lshr_b32 s61, s82, 24                                    // 00000000644C: 8F3D9852
	s_and_b32 s82, s82, 0xffffff                               // 000000006450: 8652FF52 00FFFFFF
	s_mul_i32 s82, s82, s71                                    // 000000006458: 92524752
	s_mul_i32 s61, s60, s61                                    // 00000000645C: 923D3D3C
	s_add_u32 s82, s82, s61                                    // 000000006460: 80523D52
	v_mul_lo_u32 v7, v4, s82                                   // 000000006464: D2850007 0000A504
	v_add_u32_e32 v58, v6, v7                                  // 00000000646C: 68740F06
	v_readlane_b32 s82, v3, 2                                  // 000000006470: D2890052 00010503
	s_lshr_b32 s61, s82, 24                                    // 000000006478: 8F3D9852
	s_and_b32 s82, s82, 0xffffff                               // 00000000647C: 8652FF52 00FFFFFF
	s_mul_i32 s82, s82, s71                                    // 000000006484: 92524752
	s_mul_i32 s61, s60, s61                                    // 000000006488: 923D3D3C
	s_add_u32 s82, s82, s61                                    // 00000000648C: 80523D52
	v_mul_lo_u32 v6, v5, s82                                   // 000000006490: D2850006 0000A505
	v_readlane_b32 s82, v3, 3                                  // 000000006498: D2890052 00010703
	s_lshr_b32 s61, s82, 24                                    // 0000000064A0: 8F3D9852
	s_and_b32 s82, s82, 0xffffff                               // 0000000064A4: 8652FF52 00FFFFFF
	s_mul_i32 s82, s82, s71                                    // 0000000064AC: 92524752
	s_mul_i32 s61, s60, s61                                    // 0000000064B0: 923D3D3C
	s_add_u32 s82, s82, s61                                    // 0000000064B4: 80523D52
	v_mul_lo_u32 v7, v4, s82                                   // 0000000064B8: D2850007 0000A504
	v_add_u32_e32 v59, v6, v7                                  // 0000000064C0: 68760F06
	v_readlane_b32 s82, v3, 4                                  // 0000000064C4: D2890052 00010903
	s_lshr_b32 s61, s82, 24                                    // 0000000064CC: 8F3D9852
	s_and_b32 s82, s82, 0xffffff                               // 0000000064D0: 8652FF52 00FFFFFF
	s_mul_i32 s82, s82, s71                                    // 0000000064D8: 92524752
	s_mul_i32 s61, s60, s61                                    // 0000000064DC: 923D3D3C
	s_add_u32 s82, s82, s61                                    // 0000000064E0: 80523D52
	v_mul_lo_u32 v6, v5, s82                                   // 0000000064E4: D2850006 0000A505
	v_readlane_b32 s82, v3, 5                                  // 0000000064EC: D2890052 00010B03
	s_lshr_b32 s61, s82, 24                                    // 0000000064F4: 8F3D9852
	s_and_b32 s82, s82, 0xffffff                               // 0000000064F8: 8652FF52 00FFFFFF
	s_mul_i32 s82, s82, s71                                    // 000000006500: 92524752
	s_mul_i32 s61, s60, s61                                    // 000000006504: 923D3D3C
	s_add_u32 s82, s82, s61                                    // 000000006508: 80523D52
	v_mul_lo_u32 v7, v4, s82                                   // 00000000650C: D2850007 0000A504
	v_add_u32_e32 v60, v6, v7                                  // 000000006514: 68780F06
	v_readlane_b32 s82, v3, 6                                  // 000000006518: D2890052 00010D03
	s_lshr_b32 s61, s82, 24                                    // 000000006520: 8F3D9852
	s_and_b32 s82, s82, 0xffffff                               // 000000006524: 8652FF52 00FFFFFF
	s_mul_i32 s82, s82, s71                                    // 00000000652C: 92524752
	s_mul_i32 s61, s60, s61                                    // 000000006530: 923D3D3C
	s_add_u32 s82, s82, s61                                    // 000000006534: 80523D52
	v_mul_lo_u32 v6, v5, s82                                   // 000000006538: D2850006 0000A505
	v_readlane_b32 s82, v3, 7                                  // 000000006540: D2890052 00010F03
	s_lshr_b32 s61, s82, 24                                    // 000000006548: 8F3D9852
	s_and_b32 s82, s82, 0xffffff                               // 00000000654C: 8652FF52 00FFFFFF
	s_mul_i32 s82, s82, s71                                    // 000000006554: 92524752
	s_mul_i32 s61, s60, s61                                    // 000000006558: 923D3D3C
	s_add_u32 s82, s82, s61                                    // 00000000655C: 80523D52
	v_mul_lo_u32 v7, v4, s82                                   // 000000006560: D2850007 0000A504
	v_add_u32_e32 v61, v6, v7                                  // 000000006568: 687A0F06
	v_readlane_b32 s82, v3, 8                                  // 00000000656C: D2890052 00011103
	s_lshr_b32 s61, s82, 24                                    // 000000006574: 8F3D9852
	s_and_b32 s82, s82, 0xffffff                               // 000000006578: 8652FF52 00FFFFFF
	s_mul_i32 s82, s82, s71                                    // 000000006580: 92524752
	s_mul_i32 s61, s60, s61                                    // 000000006584: 923D3D3C
	s_add_u32 s82, s82, s61                                    // 000000006588: 80523D52
	v_mul_lo_u32 v6, v5, s82                                   // 00000000658C: D2850006 0000A505
	v_readlane_b32 s82, v3, 9                                  // 000000006594: D2890052 00011303
	s_lshr_b32 s61, s82, 24                                    // 00000000659C: 8F3D9852
	s_and_b32 s82, s82, 0xffffff                               // 0000000065A0: 8652FF52 00FFFFFF
	s_mul_i32 s82, s82, s71                                    // 0000000065A8: 92524752
	s_mul_i32 s61, s60, s61                                    // 0000000065AC: 923D3D3C
	s_add_u32 s82, s82, s61                                    // 0000000065B0: 80523D52
	v_mul_lo_u32 v7, v4, s82                                   // 0000000065B4: D2850007 0000A504
	v_add_u32_e32 v62, v6, v7                                  // 0000000065BC: 687C0F06
	v_readlane_b32 s82, v3, 10                                 // 0000000065C0: D2890052 00011503
	s_lshr_b32 s61, s82, 24                                    // 0000000065C8: 8F3D9852
	s_and_b32 s82, s82, 0xffffff                               // 0000000065CC: 8652FF52 00FFFFFF
	s_mul_i32 s82, s82, s71                                    // 0000000065D4: 92524752
	s_mul_i32 s61, s60, s61                                    // 0000000065D8: 923D3D3C
	s_add_u32 s82, s82, s61                                    // 0000000065DC: 80523D52
	v_mul_lo_u32 v6, v5, s82                                   // 0000000065E0: D2850006 0000A505
	v_readlane_b32 s82, v3, 11                                 // 0000000065E8: D2890052 00011703
	s_lshr_b32 s61, s82, 24                                    // 0000000065F0: 8F3D9852
	s_and_b32 s82, s82, 0xffffff                               // 0000000065F4: 8652FF52 00FFFFFF
	s_mul_i32 s82, s82, s71                                    // 0000000065FC: 92524752
	s_mul_i32 s61, s60, s61                                    // 000000006600: 923D3D3C
	s_add_u32 s82, s82, s61                                    // 000000006604: 80523D52
	v_mul_lo_u32 v7, v4, s82                                   // 000000006608: D2850007 0000A504
	v_add_u32_e32 v63, v6, v7                                  // 000000006610: 687E0F06
	v_readlane_b32 s82, v3, 12                                 // 000000006614: D2890052 00011903
	s_lshr_b32 s61, s82, 24                                    // 00000000661C: 8F3D9852
	s_and_b32 s82, s82, 0xffffff                               // 000000006620: 8652FF52 00FFFFFF
	s_mul_i32 s82, s82, s71                                    // 000000006628: 92524752
	s_mul_i32 s61, s60, s61                                    // 00000000662C: 923D3D3C
	s_add_u32 s82, s82, s61                                    // 000000006630: 80523D52
	v_mul_lo_u32 v6, v5, s82                                   // 000000006634: D2850006 0000A505
	v_readlane_b32 s82, v3, 13                                 // 00000000663C: D2890052 00011B03
	s_lshr_b32 s61, s82, 24                                    // 000000006644: 8F3D9852
	s_and_b32 s82, s82, 0xffffff                               // 000000006648: 8652FF52 00FFFFFF
	s_mul_i32 s82, s82, s71                                    // 000000006650: 92524752
	s_mul_i32 s61, s60, s61                                    // 000000006654: 923D3D3C
	s_add_u32 s82, s82, s61                                    // 000000006658: 80523D52
	v_mul_lo_u32 v7, v4, s82                                   // 00000000665C: D2850007 0000A504
	v_add_u32_e32 v64, v6, v7                                  // 000000006664: 68800F06
	v_readlane_b32 s82, v3, 14                                 // 000000006668: D2890052 00011D03
	s_lshr_b32 s61, s82, 24                                    // 000000006670: 8F3D9852
	s_and_b32 s82, s82, 0xffffff                               // 000000006674: 8652FF52 00FFFFFF
	s_mul_i32 s82, s82, s71                                    // 00000000667C: 92524752
	s_mul_i32 s61, s60, s61                                    // 000000006680: 923D3D3C
	s_add_u32 s82, s82, s61                                    // 000000006684: 80523D52
	v_mul_lo_u32 v6, v5, s82                                   // 000000006688: D2850006 0000A505
	v_readlane_b32 s82, v3, 15                                 // 000000006690: D2890052 00011F03
	s_lshr_b32 s61, s82, 24                                    // 000000006698: 8F3D9852
	s_and_b32 s82, s82, 0xffffff                               // 00000000669C: 8652FF52 00FFFFFF
	s_mul_i32 s82, s82, s71                                    // 0000000066A4: 92524752
	s_mul_i32 s61, s60, s61                                    // 0000000066A8: 923D3D3C
	s_add_u32 s82, s82, s61                                    // 0000000066AC: 80523D52
	v_mul_lo_u32 v7, v4, s82                                   // 0000000066B0: D2850007 0000A504
	v_add_u32_e32 v65, v6, v7                                  // 0000000066B8: 68820F06
	v_readlane_b32 s82, v3, 16                                 // 0000000066BC: D2890052 00012103
	s_lshr_b32 s61, s82, 24                                    // 0000000066C4: 8F3D9852
	s_and_b32 s82, s82, 0xffffff                               // 0000000066C8: 8652FF52 00FFFFFF
	s_mul_i32 s82, s82, s71                                    // 0000000066D0: 92524752
	s_mul_i32 s61, s60, s61                                    // 0000000066D4: 923D3D3C
	s_add_u32 s82, s82, s61                                    // 0000000066D8: 80523D52
	v_mul_lo_u32 v6, v5, s82                                   // 0000000066DC: D2850006 0000A505
	v_readlane_b32 s82, v3, 17                                 // 0000000066E4: D2890052 00012303
	s_lshr_b32 s61, s82, 24                                    // 0000000066EC: 8F3D9852
	s_and_b32 s82, s82, 0xffffff                               // 0000000066F0: 8652FF52 00FFFFFF
	s_mul_i32 s82, s82, s71                                    // 0000000066F8: 92524752
	s_mul_i32 s61, s60, s61                                    // 0000000066FC: 923D3D3C
	s_add_u32 s82, s82, s61                                    // 000000006700: 80523D52
	v_mul_lo_u32 v7, v4, s82                                   // 000000006704: D2850007 0000A504
	v_add_u32_e32 v66, v6, v7                                  // 00000000670C: 68840F06
	v_readlane_b32 s82, v3, 18                                 // 000000006710: D2890052 00012503
	s_lshr_b32 s61, s82, 24                                    // 000000006718: 8F3D9852
	s_and_b32 s82, s82, 0xffffff                               // 00000000671C: 8652FF52 00FFFFFF
	s_mul_i32 s82, s82, s71                                    // 000000006724: 92524752
	s_mul_i32 s61, s60, s61                                    // 000000006728: 923D3D3C
	s_add_u32 s82, s82, s61                                    // 00000000672C: 80523D52
	v_mul_lo_u32 v6, v5, s82                                   // 000000006730: D2850006 0000A505
	v_readlane_b32 s82, v3, 19                                 // 000000006738: D2890052 00012703
	s_lshr_b32 s61, s82, 24                                    // 000000006740: 8F3D9852
	s_and_b32 s82, s82, 0xffffff                               // 000000006744: 8652FF52 00FFFFFF
	s_mul_i32 s82, s82, s71                                    // 00000000674C: 92524752
	s_mul_i32 s61, s60, s61                                    // 000000006750: 923D3D3C
	s_add_u32 s82, s82, s61                                    // 000000006754: 80523D52
	v_mul_lo_u32 v7, v4, s82                                   // 000000006758: D2850007 0000A504
	v_add_u32_e32 v67, v6, v7                                  // 000000006760: 68860F06
	v_readlane_b32 s82, v3, 20                                 // 000000006764: D2890052 00012903
	s_lshr_b32 s61, s82, 24                                    // 00000000676C: 8F3D9852
	s_and_b32 s82, s82, 0xffffff                               // 000000006770: 8652FF52 00FFFFFF
	s_mul_i32 s82, s82, s71                                    // 000000006778: 92524752
	s_mul_i32 s61, s60, s61                                    // 00000000677C: 923D3D3C
	s_add_u32 s82, s82, s61                                    // 000000006780: 80523D52
	v_mul_lo_u32 v6, v5, s82                                   // 000000006784: D2850006 0000A505
	v_readlane_b32 s82, v3, 21                                 // 00000000678C: D2890052 00012B03
	s_lshr_b32 s61, s82, 24                                    // 000000006794: 8F3D9852
	s_and_b32 s82, s82, 0xffffff                               // 000000006798: 8652FF52 00FFFFFF
	s_mul_i32 s82, s82, s71                                    // 0000000067A0: 92524752
	s_mul_i32 s61, s60, s61                                    // 0000000067A4: 923D3D3C
	s_add_u32 s82, s82, s61                                    // 0000000067A8: 80523D52
	v_mul_lo_u32 v7, v4, s82                                   // 0000000067AC: D2850007 0000A504
	v_add_u32_e32 v68, v6, v7                                  // 0000000067B4: 68880F06
	v_readlane_b32 s82, v3, 22                                 // 0000000067B8: D2890052 00012D03
	s_lshr_b32 s61, s82, 24                                    // 0000000067C0: 8F3D9852
	s_and_b32 s82, s82, 0xffffff                               // 0000000067C4: 8652FF52 00FFFFFF
	s_mul_i32 s82, s82, s71                                    // 0000000067CC: 92524752
	s_mul_i32 s61, s60, s61                                    // 0000000067D0: 923D3D3C
	s_add_u32 s82, s82, s61                                    // 0000000067D4: 80523D52
	v_mul_lo_u32 v6, v5, s82                                   // 0000000067D8: D2850006 0000A505
	v_readlane_b32 s82, v3, 23                                 // 0000000067E0: D2890052 00012F03
	s_lshr_b32 s61, s82, 24                                    // 0000000067E8: 8F3D9852
	s_and_b32 s82, s82, 0xffffff                               // 0000000067EC: 8652FF52 00FFFFFF
	s_mul_i32 s82, s82, s71                                    // 0000000067F4: 92524752
	s_mul_i32 s61, s60, s61                                    // 0000000067F8: 923D3D3C
	s_add_u32 s82, s82, s61                                    // 0000000067FC: 80523D52
	v_mul_lo_u32 v7, v4, s82                                   // 000000006800: D2850007 0000A504
	v_add_u32_e32 v69, v6, v7                                  // 000000006808: 688A0F06
	v_readlane_b32 s82, v3, 24                                 // 00000000680C: D2890052 00013103
	s_lshr_b32 s61, s82, 24                                    // 000000006814: 8F3D9852
	s_and_b32 s82, s82, 0xffffff                               // 000000006818: 8652FF52 00FFFFFF
	s_mul_i32 s82, s82, s71                                    // 000000006820: 92524752
	s_mul_i32 s61, s60, s61                                    // 000000006824: 923D3D3C
	s_add_u32 s82, s82, s61                                    // 000000006828: 80523D52
	v_mul_lo_u32 v6, v5, s82                                   // 00000000682C: D2850006 0000A505
	v_readlane_b32 s82, v3, 25                                 // 000000006834: D2890052 00013303
	s_lshr_b32 s61, s82, 24                                    // 00000000683C: 8F3D9852
	s_and_b32 s82, s82, 0xffffff                               // 000000006840: 8652FF52 00FFFFFF
	s_mul_i32 s82, s82, s71                                    // 000000006848: 92524752
	s_mul_i32 s61, s60, s61                                    // 00000000684C: 923D3D3C
	s_add_u32 s82, s82, s61                                    // 000000006850: 80523D52
	v_mul_lo_u32 v7, v4, s82                                   // 000000006854: D2850007 0000A504
	v_add_u32_e32 v70, v6, v7                                  // 00000000685C: 688C0F06
	v_readlane_b32 s82, v3, 26                                 // 000000006860: D2890052 00013503
	s_lshr_b32 s61, s82, 24                                    // 000000006868: 8F3D9852
	s_and_b32 s82, s82, 0xffffff                               // 00000000686C: 8652FF52 00FFFFFF
	s_mul_i32 s82, s82, s71                                    // 000000006874: 92524752
	s_mul_i32 s61, s60, s61                                    // 000000006878: 923D3D3C
	s_add_u32 s82, s82, s61                                    // 00000000687C: 80523D52
	v_mul_lo_u32 v6, v5, s82                                   // 000000006880: D2850006 0000A505
	v_readlane_b32 s82, v3, 27                                 // 000000006888: D2890052 00013703
	s_lshr_b32 s61, s82, 24                                    // 000000006890: 8F3D9852
	s_and_b32 s82, s82, 0xffffff                               // 000000006894: 8652FF52 00FFFFFF
	s_mul_i32 s82, s82, s71                                    // 00000000689C: 92524752
	s_mul_i32 s61, s60, s61                                    // 0000000068A0: 923D3D3C
	s_add_u32 s82, s82, s61                                    // 0000000068A4: 80523D52
	v_mul_lo_u32 v7, v4, s82                                   // 0000000068A8: D2850007 0000A504
	v_add_u32_e32 v71, v6, v7                                  // 0000000068B0: 688E0F06
	v_and_b32_e32 v4, 31, v0                                   // 0000000068B4: 2608009F
	v_lshrrev_b32_e32 v4, 1, v4                                // 0000000068B8: 20080881
	s_cmp_eq_u32 s88, 0                                        // 0000000068BC: BF068058
	s_cselect_b32 s61, 2, 4                                    // 0000000068C0: 853D8482
	v_mul_lo_u32 v4, v4, s61                                   // 0000000068C4: D2850004 00007B04
	v_and_b32_e64 v5, v0, 1                                    // 0000000068CC: D1130005 00010300
	v_add_u32_e32 v4, v4, v5                                   // 0000000068D4: 68080B04
	v_lshlrev_b32_e32 v4, 2, v4                                // 0000000068D8: 24080882
	v_add_u32_e32 v58, v58, v4                                 // 0000000068DC: 6874093A
	v_add_u32_e32 v59, v59, v4                                 // 0000000068E0: 6876093B
	v_add_u32_e32 v60, v60, v4                                 // 0000000068E4: 6878093C
	v_add_u32_e32 v61, v61, v4                                 // 0000000068E8: 687A093D
	v_add_u32_e32 v62, v62, v4                                 // 0000000068EC: 687C093E
	v_add_u32_e32 v63, v63, v4                                 // 0000000068F0: 687E093F
	v_add_u32_e32 v64, v64, v4                                 // 0000000068F4: 68800940
	v_add_u32_e32 v65, v65, v4                                 // 0000000068F8: 68820941
	v_add_u32_e32 v66, v66, v4                                 // 0000000068FC: 68840942
	v_add_u32_e32 v67, v67, v4                                 // 000000006900: 68860943
	v_add_u32_e32 v68, v68, v4                                 // 000000006904: 68880944
	v_add_u32_e32 v69, v69, v4                                 // 000000006908: 688A0945
	v_add_u32_e32 v70, v70, v4                                 // 00000000690C: 688C0946
	v_add_u32_e32 v71, v71, v4                                 // 000000006910: 688E0947
	s_waitcnt lgkmcnt(0)                                       // 000000006914: BF8CC07F
	s_barrier                                                  // 000000006918: BF8A0000
	ds_read_b32 v76, v21                                       // 00000000691C: D86C0000 4C000015
	ds_read_b32 v77, v21 offset:64                             // 000000006924: D86C0040 4D000015
	ds_read_b32 v80, v21 offset:2176                           // 00000000692C: D86C0880 50000015
	ds_read_b32 v81, v21 offset:2240                           // 000000006934: D86C08C0 51000015
	ds_read_b32 v84, v21 offset:4352                           // 00000000693C: D86C1100 54000015
	ds_read_b32 v85, v21 offset:4416                           // 000000006944: D86C1140 55000015
	ds_read_b32 v88, v21 offset:6528                           // 00000000694C: D86C1980 58000015
	ds_read_b32 v89, v21 offset:6592                           // 000000006954: D86C19C0 59000015
	ds_read_b32 v92, v21 offset:8704                           // 00000000695C: D86C2200 5C000015
	ds_read_b32 v93, v21 offset:8768                           // 000000006964: D86C2240 5D000015
	ds_read_b32 v96, v21 offset:10880                          // 00000000696C: D86C2A80 60000015
	ds_read_b32 v97, v21 offset:10944                          // 000000006974: D86C2AC0 61000015
	ds_read_b32 v100, v21 offset:13056                         // 00000000697C: D86C3300 64000015
	ds_read_b32 v101, v21 offset:13120                         // 000000006984: D86C3340 65000015
	s_waitcnt lgkmcnt(0)                                       // 00000000698C: BF8CC07F
	s_mov_b32 s36, -1                                          // 000000006990: BEA400C1
	s_mov_b32 s37, -1                                          // 000000006994: BEA500C1
	v_mov_b32_e32 v7, 0                                        // 000000006998: 7E0E0280
	s_mov_b64 exec, s[36:37]                                   // 00000000699C: BEFE0124
	v_mov_b32_e32 v6, v58                                      // 0000000069A0: 7E0C033A
	s_mov_b64 s[60:61], 0                                      // 0000000069A4: BEBC0180
	v_readlane_b32 s82, v3, 0                                  // 0000000069A8: D2890052 00010103
	s_and_b32 s82, s82, 0xffffff                               // 0000000069B0: 8652FF52 00FFFFFF
	s_cmp_lt_u32 s82, s66                                      // 0000000069B8: BF0A4252
	s_cselect_b32 s20, s36, s60                                // 0000000069BC: 85143C24
	v_readlane_b32 s82, v3, 1                                  // 0000000069C0: D2890052 00010303
	s_and_b32 s82, s82, 0xffffff                               // 0000000069C8: 8652FF52 00FFFFFF
	s_cmp_lt_u32 s82, s66                                      // 0000000069D0: BF0A4252
	s_cselect_b32 s21, s36, s60                                // 0000000069D4: 85153C24
	s_mov_b64 exec, s[20:21]                                   // 0000000069D8: BEFE0114
	global_atomic_add_f32 v6, v76, s[8:9]                      // 0000000069DC: DD348000 00084C06
	s_mov_b64 exec, s[36:37]                                   // 0000000069E4: BEFE0124
	v_mov_b32_e32 v6, v59                                      // 0000000069E8: 7E0C033B
	s_mov_b64 s[60:61], 0                                      // 0000000069EC: BEBC0180
	v_readlane_b32 s82, v3, 2                                  // 0000000069F0: D2890052 00010503
	s_and_b32 s82, s82, 0xffffff                               // 0000000069F8: 8652FF52 00FFFFFF
	s_cmp_lt_u32 s82, s66                                      // 000000006A00: BF0A4252
	s_cselect_b32 s20, s36, s60                                // 000000006A04: 85143C24
	v_readlane_b32 s82, v3, 3                                  // 000000006A08: D2890052 00010703
	s_and_b32 s82, s82, 0xffffff                               // 000000006A10: 8652FF52 00FFFFFF
	s_cmp_lt_u32 s82, s66                                      // 000000006A18: BF0A4252
	s_cselect_b32 s21, s36, s60                                // 000000006A1C: 85153C24
	s_mov_b64 exec, s[20:21]                                   // 000000006A20: BEFE0114
	global_atomic_add_f32 v6, v77, s[8:9]                      // 000000006A24: DD348000 00084D06
	s_mov_b64 exec, s[36:37]                                   // 000000006A2C: BEFE0124
	v_mov_b32_e32 v6, v60                                      // 000000006A30: 7E0C033C
	s_mov_b64 s[60:61], 0                                      // 000000006A34: BEBC0180
	v_readlane_b32 s82, v3, 4                                  // 000000006A38: D2890052 00010903
	s_and_b32 s82, s82, 0xffffff                               // 000000006A40: 8652FF52 00FFFFFF
	s_cmp_lt_u32 s82, s66                                      // 000000006A48: BF0A4252
	s_cselect_b32 s20, s36, s60                                // 000000006A4C: 85143C24
	v_readlane_b32 s82, v3, 5                                  // 000000006A50: D2890052 00010B03
	s_and_b32 s82, s82, 0xffffff                               // 000000006A58: 8652FF52 00FFFFFF
	s_cmp_lt_u32 s82, s66                                      // 000000006A60: BF0A4252
	s_cselect_b32 s21, s36, s60                                // 000000006A64: 85153C24
	s_mov_b64 exec, s[20:21]                                   // 000000006A68: BEFE0114
	global_atomic_add_f32 v6, v80, s[8:9]                      // 000000006A6C: DD348000 00085006
	s_mov_b64 exec, s[36:37]                                   // 000000006A74: BEFE0124
	v_mov_b32_e32 v6, v61                                      // 000000006A78: 7E0C033D
	s_mov_b64 s[60:61], 0                                      // 000000006A7C: BEBC0180
	v_readlane_b32 s82, v3, 6                                  // 000000006A80: D2890052 00010D03
	s_and_b32 s82, s82, 0xffffff                               // 000000006A88: 8652FF52 00FFFFFF
	s_cmp_lt_u32 s82, s66                                      // 000000006A90: BF0A4252
	s_cselect_b32 s20, s36, s60                                // 000000006A94: 85143C24
	v_readlane_b32 s82, v3, 7                                  // 000000006A98: D2890052 00010F03
	s_and_b32 s82, s82, 0xffffff                               // 000000006AA0: 8652FF52 00FFFFFF
	s_cmp_lt_u32 s82, s66                                      // 000000006AA8: BF0A4252
	s_cselect_b32 s21, s36, s60                                // 000000006AAC: 85153C24
	s_mov_b64 exec, s[20:21]                                   // 000000006AB0: BEFE0114
	global_atomic_add_f32 v6, v81, s[8:9]                      // 000000006AB4: DD348000 00085106
	s_mov_b64 exec, s[36:37]                                   // 000000006ABC: BEFE0124
	v_mov_b32_e32 v6, v62                                      // 000000006AC0: 7E0C033E
	s_mov_b64 s[60:61], 0                                      // 000000006AC4: BEBC0180
	v_readlane_b32 s82, v3, 8                                  // 000000006AC8: D2890052 00011103
	s_and_b32 s82, s82, 0xffffff                               // 000000006AD0: 8652FF52 00FFFFFF
	s_cmp_lt_u32 s82, s66                                      // 000000006AD8: BF0A4252
	s_cselect_b32 s20, s36, s60                                // 000000006ADC: 85143C24
	v_readlane_b32 s82, v3, 9                                  // 000000006AE0: D2890052 00011303
	s_and_b32 s82, s82, 0xffffff                               // 000000006AE8: 8652FF52 00FFFFFF
	s_cmp_lt_u32 s82, s66                                      // 000000006AF0: BF0A4252
	s_cselect_b32 s21, s36, s60                                // 000000006AF4: 85153C24
	s_mov_b64 exec, s[20:21]                                   // 000000006AF8: BEFE0114
	global_atomic_add_f32 v6, v84, s[8:9]                      // 000000006AFC: DD348000 00085406
	s_mov_b64 exec, s[36:37]                                   // 000000006B04: BEFE0124
	v_mov_b32_e32 v6, v63                                      // 000000006B08: 7E0C033F
	s_mov_b64 s[60:61], 0                                      // 000000006B0C: BEBC0180
	v_readlane_b32 s82, v3, 10                                 // 000000006B10: D2890052 00011503
	s_and_b32 s82, s82, 0xffffff                               // 000000006B18: 8652FF52 00FFFFFF
	s_cmp_lt_u32 s82, s66                                      // 000000006B20: BF0A4252
	s_cselect_b32 s20, s36, s60                                // 000000006B24: 85143C24
	v_readlane_b32 s82, v3, 11                                 // 000000006B28: D2890052 00011703
	s_and_b32 s82, s82, 0xffffff                               // 000000006B30: 8652FF52 00FFFFFF
	s_cmp_lt_u32 s82, s66                                      // 000000006B38: BF0A4252
	s_cselect_b32 s21, s36, s60                                // 000000006B3C: 85153C24
	s_mov_b64 exec, s[20:21]                                   // 000000006B40: BEFE0114
	global_atomic_add_f32 v6, v85, s[8:9]                      // 000000006B44: DD348000 00085506
	s_mov_b64 exec, s[36:37]                                   // 000000006B4C: BEFE0124
	v_mov_b32_e32 v6, v64                                      // 000000006B50: 7E0C0340
	s_mov_b64 s[60:61], 0                                      // 000000006B54: BEBC0180
	v_readlane_b32 s82, v3, 12                                 // 000000006B58: D2890052 00011903
	s_and_b32 s82, s82, 0xffffff                               // 000000006B60: 8652FF52 00FFFFFF
	s_cmp_lt_u32 s82, s66                                      // 000000006B68: BF0A4252
	s_cselect_b32 s20, s36, s60                                // 000000006B6C: 85143C24
	v_readlane_b32 s82, v3, 13                                 // 000000006B70: D2890052 00011B03
	s_and_b32 s82, s82, 0xffffff                               // 000000006B78: 8652FF52 00FFFFFF
	s_cmp_lt_u32 s82, s66                                      // 000000006B80: BF0A4252
	s_cselect_b32 s21, s36, s60                                // 000000006B84: 85153C24
	s_mov_b64 exec, s[20:21]                                   // 000000006B88: BEFE0114
	global_atomic_add_f32 v6, v88, s[8:9]                      // 000000006B8C: DD348000 00085806
	s_mov_b64 exec, s[36:37]                                   // 000000006B94: BEFE0124
	v_mov_b32_e32 v6, v65                                      // 000000006B98: 7E0C0341
	s_mov_b64 s[60:61], 0                                      // 000000006B9C: BEBC0180
	v_readlane_b32 s82, v3, 14                                 // 000000006BA0: D2890052 00011D03
	s_and_b32 s82, s82, 0xffffff                               // 000000006BA8: 8652FF52 00FFFFFF
	s_cmp_lt_u32 s82, s66                                      // 000000006BB0: BF0A4252
	s_cselect_b32 s20, s36, s60                                // 000000006BB4: 85143C24
	v_readlane_b32 s82, v3, 15                                 // 000000006BB8: D2890052 00011F03
	s_and_b32 s82, s82, 0xffffff                               // 000000006BC0: 8652FF52 00FFFFFF
	s_cmp_lt_u32 s82, s66                                      // 000000006BC8: BF0A4252
	s_cselect_b32 s21, s36, s60                                // 000000006BCC: 85153C24
	s_mov_b64 exec, s[20:21]                                   // 000000006BD0: BEFE0114
	global_atomic_add_f32 v6, v89, s[8:9]                      // 000000006BD4: DD348000 00085906
	s_mov_b64 exec, s[36:37]                                   // 000000006BDC: BEFE0124
	v_mov_b32_e32 v6, v66                                      // 000000006BE0: 7E0C0342
	s_mov_b64 s[60:61], 0                                      // 000000006BE4: BEBC0180
	v_readlane_b32 s82, v3, 16                                 // 000000006BE8: D2890052 00012103
	s_and_b32 s82, s82, 0xffffff                               // 000000006BF0: 8652FF52 00FFFFFF
	s_cmp_lt_u32 s82, s66                                      // 000000006BF8: BF0A4252
	s_cselect_b32 s20, s36, s60                                // 000000006BFC: 85143C24
	v_readlane_b32 s82, v3, 17                                 // 000000006C00: D2890052 00012303
	s_and_b32 s82, s82, 0xffffff                               // 000000006C08: 8652FF52 00FFFFFF
	s_cmp_lt_u32 s82, s66                                      // 000000006C10: BF0A4252
	s_cselect_b32 s21, s36, s60                                // 000000006C14: 85153C24
	s_mov_b64 exec, s[20:21]                                   // 000000006C18: BEFE0114
	global_atomic_add_f32 v6, v92, s[8:9]                      // 000000006C1C: DD348000 00085C06
	s_mov_b64 exec, s[36:37]                                   // 000000006C24: BEFE0124
	v_mov_b32_e32 v6, v67                                      // 000000006C28: 7E0C0343
	s_mov_b64 s[60:61], 0                                      // 000000006C2C: BEBC0180
	v_readlane_b32 s82, v3, 18                                 // 000000006C30: D2890052 00012503
	s_and_b32 s82, s82, 0xffffff                               // 000000006C38: 8652FF52 00FFFFFF
	s_cmp_lt_u32 s82, s66                                      // 000000006C40: BF0A4252
	s_cselect_b32 s20, s36, s60                                // 000000006C44: 85143C24
	v_readlane_b32 s82, v3, 19                                 // 000000006C48: D2890052 00012703
	s_and_b32 s82, s82, 0xffffff                               // 000000006C50: 8652FF52 00FFFFFF
	s_cmp_lt_u32 s82, s66                                      // 000000006C58: BF0A4252
	s_cselect_b32 s21, s36, s60                                // 000000006C5C: 85153C24
	s_mov_b64 exec, s[20:21]                                   // 000000006C60: BEFE0114
	global_atomic_add_f32 v6, v93, s[8:9]                      // 000000006C64: DD348000 00085D06
	s_mov_b64 exec, s[36:37]                                   // 000000006C6C: BEFE0124
	v_mov_b32_e32 v6, v68                                      // 000000006C70: 7E0C0344
	s_mov_b64 s[60:61], 0                                      // 000000006C74: BEBC0180
	v_readlane_b32 s82, v3, 20                                 // 000000006C78: D2890052 00012903
	s_and_b32 s82, s82, 0xffffff                               // 000000006C80: 8652FF52 00FFFFFF
	s_cmp_lt_u32 s82, s66                                      // 000000006C88: BF0A4252
	s_cselect_b32 s20, s36, s60                                // 000000006C8C: 85143C24
	v_readlane_b32 s82, v3, 21                                 // 000000006C90: D2890052 00012B03
	s_and_b32 s82, s82, 0xffffff                               // 000000006C98: 8652FF52 00FFFFFF
	s_cmp_lt_u32 s82, s66                                      // 000000006CA0: BF0A4252
	s_cselect_b32 s21, s36, s60                                // 000000006CA4: 85153C24
	s_mov_b64 exec, s[20:21]                                   // 000000006CA8: BEFE0114
	global_atomic_add_f32 v6, v96, s[8:9]                      // 000000006CAC: DD348000 00086006
	s_mov_b64 exec, s[36:37]                                   // 000000006CB4: BEFE0124
	v_mov_b32_e32 v6, v69                                      // 000000006CB8: 7E0C0345
	s_mov_b64 s[60:61], 0                                      // 000000006CBC: BEBC0180
	v_readlane_b32 s82, v3, 22                                 // 000000006CC0: D2890052 00012D03
	s_and_b32 s82, s82, 0xffffff                               // 000000006CC8: 8652FF52 00FFFFFF
	s_cmp_lt_u32 s82, s66                                      // 000000006CD0: BF0A4252
	s_cselect_b32 s20, s36, s60                                // 000000006CD4: 85143C24
	v_readlane_b32 s82, v3, 23                                 // 000000006CD8: D2890052 00012F03
	s_and_b32 s82, s82, 0xffffff                               // 000000006CE0: 8652FF52 00FFFFFF
	s_cmp_lt_u32 s82, s66                                      // 000000006CE8: BF0A4252
	s_cselect_b32 s21, s36, s60                                // 000000006CEC: 85153C24
	s_mov_b64 exec, s[20:21]                                   // 000000006CF0: BEFE0114
	global_atomic_add_f32 v6, v97, s[8:9]                      // 000000006CF4: DD348000 00086106
	s_mov_b64 exec, s[36:37]                                   // 000000006CFC: BEFE0124
	v_mov_b32_e32 v6, v70                                      // 000000006D00: 7E0C0346
	s_mov_b64 s[60:61], 0                                      // 000000006D04: BEBC0180
	v_readlane_b32 s82, v3, 24                                 // 000000006D08: D2890052 00013103
	s_and_b32 s82, s82, 0xffffff                               // 000000006D10: 8652FF52 00FFFFFF
	s_cmp_lt_u32 s82, s66                                      // 000000006D18: BF0A4252
	s_cselect_b32 s20, s36, s60                                // 000000006D1C: 85143C24
	v_readlane_b32 s82, v3, 25                                 // 000000006D20: D2890052 00013303
	s_and_b32 s82, s82, 0xffffff                               // 000000006D28: 8652FF52 00FFFFFF
	s_cmp_lt_u32 s82, s66                                      // 000000006D30: BF0A4252
	s_cselect_b32 s21, s36, s60                                // 000000006D34: 85153C24
	s_mov_b64 exec, s[20:21]                                   // 000000006D38: BEFE0114
	global_atomic_add_f32 v6, v100, s[8:9]                     // 000000006D3C: DD348000 00086406
	s_mov_b64 exec, s[36:37]                                   // 000000006D44: BEFE0124
	v_mov_b32_e32 v6, v71                                      // 000000006D48: 7E0C0347
	s_mov_b64 s[60:61], 0                                      // 000000006D4C: BEBC0180
	v_readlane_b32 s82, v3, 26                                 // 000000006D50: D2890052 00013503
	s_and_b32 s82, s82, 0xffffff                               // 000000006D58: 8652FF52 00FFFFFF
	s_cmp_lt_u32 s82, s66                                      // 000000006D60: BF0A4252
	s_cselect_b32 s20, s36, s60                                // 000000006D64: 85143C24
	v_readlane_b32 s82, v3, 27                                 // 000000006D68: D2890052 00013703
	s_and_b32 s82, s82, 0xffffff                               // 000000006D70: 8652FF52 00FFFFFF
	s_cmp_lt_u32 s82, s66                                      // 000000006D78: BF0A4252
	s_cselect_b32 s21, s36, s60                                // 000000006D7C: 85153C24
	s_mov_b64 exec, s[20:21]                                   // 000000006D80: BEFE0114
	global_atomic_add_f32 v6, v101, s[8:9]                     // 000000006D84: DD348000 00086506
	s_mov_b64 exec, s[36:37]                                   // 000000006D8C: BEFE0124
	ds_write_b64 v20, v[78:79]                                 // 000000006D90: D89A0000 00004E14
	ds_write_b64 v20, v[82:83] offset:2176                     // 000000006D98: D89A0880 00005214
	ds_write_b64 v20, v[86:87] offset:4352                     // 000000006DA0: D89A1100 00005614
	ds_write_b64 v20, v[90:91] offset:6528                     // 000000006DA8: D89A1980 00005A14
	ds_write_b64 v20, v[94:95] offset:8704                     // 000000006DB0: D89A2200 00005E14
	ds_write_b64 v20, v[98:99] offset:10880                    // 000000006DB8: D89A2A80 00006214
	ds_write_b64 v20, v[102:103] offset:13056                  // 000000006DC0: D89A3300 00006614
	s_waitcnt lgkmcnt(0)                                       // 000000006DC8: BF8CC07F
	s_barrier                                                  // 000000006DCC: BF8A0000
	ds_read_b32 v78, v21                                       // 000000006DD0: D86C0000 4E000015
	ds_read_b32 v79, v21 offset:64                             // 000000006DD8: D86C0040 4F000015
	ds_read_b32 v82, v21 offset:2176                           // 000000006DE0: D86C0880 52000015
	ds_read_b32 v83, v21 offset:2240                           // 000000006DE8: D86C08C0 53000015
	ds_read_b32 v86, v21 offset:4352                           // 000000006DF0: D86C1100 56000015
	ds_read_b32 v87, v21 offset:4416                           // 000000006DF8: D86C1140 57000015
	ds_read_b32 v90, v21 offset:6528                           // 000000006E00: D86C1980 5A000015
	ds_read_b32 v91, v21 offset:6592                           // 000000006E08: D86C19C0 5B000015
	ds_read_b32 v94, v21 offset:8704                           // 000000006E10: D86C2200 5E000015
	ds_read_b32 v95, v21 offset:8768                           // 000000006E18: D86C2240 5F000015
	ds_read_b32 v98, v21 offset:10880                          // 000000006E20: D86C2A80 62000015
	ds_read_b32 v99, v21 offset:10944                          // 000000006E28: D86C2AC0 63000015
	ds_read_b32 v102, v21 offset:13056                         // 000000006E30: D86C3300 66000015
	ds_read_b32 v103, v21 offset:13120                         // 000000006E38: D86C3340 67000015
	s_waitcnt lgkmcnt(0)                                       // 000000006E40: BF8CC07F
	v_mov_b32_e32 v7, 0                                        // 000000006E44: 7E0E0280
	s_mov_b64 exec, s[36:37]                                   // 000000006E48: BEFE0124
	v_mov_b32_e32 v6, v58                                      // 000000006E4C: 7E0C033A
	s_mov_b64 s[60:61], 0                                      // 000000006E50: BEBC0180
	v_readlane_b32 s82, v3, 0                                  // 000000006E54: D2890052 00010103
	s_and_b32 s82, s82, 0xffffff                               // 000000006E5C: 8652FF52 00FFFFFF
	s_cmp_lt_u32 s82, s66                                      // 000000006E64: BF0A4252
	s_cselect_b32 s20, s36, s60                                // 000000006E68: 85143C24
	v_readlane_b32 s82, v3, 1                                  // 000000006E6C: D2890052 00010303
	s_and_b32 s82, s82, 0xffffff                               // 000000006E74: 8652FF52 00FFFFFF
	s_cmp_lt_u32 s82, s66                                      // 000000006E7C: BF0A4252
	s_cselect_b32 s21, s36, s60                                // 000000006E80: 85153C24
	s_mov_b64 exec, s[20:21]                                   // 000000006E84: BEFE0114
	global_atomic_add_f32 v6, v78, s[8:9] offset:8             // 000000006E88: DD348008 00084E06
	s_mov_b64 exec, s[36:37]                                   // 000000006E90: BEFE0124
	v_mov_b32_e32 v6, v59                                      // 000000006E94: 7E0C033B
	s_mov_b64 s[60:61], 0                                      // 000000006E98: BEBC0180
	v_readlane_b32 s82, v3, 2                                  // 000000006E9C: D2890052 00010503
	s_and_b32 s82, s82, 0xffffff                               // 000000006EA4: 8652FF52 00FFFFFF
	s_cmp_lt_u32 s82, s66                                      // 000000006EAC: BF0A4252
	s_cselect_b32 s20, s36, s60                                // 000000006EB0: 85143C24
	v_readlane_b32 s82, v3, 3                                  // 000000006EB4: D2890052 00010703
	s_and_b32 s82, s82, 0xffffff                               // 000000006EBC: 8652FF52 00FFFFFF
	s_cmp_lt_u32 s82, s66                                      // 000000006EC4: BF0A4252
	s_cselect_b32 s21, s36, s60                                // 000000006EC8: 85153C24
	s_mov_b64 exec, s[20:21]                                   // 000000006ECC: BEFE0114
	global_atomic_add_f32 v6, v79, s[8:9] offset:8             // 000000006ED0: DD348008 00084F06
	s_mov_b64 exec, s[36:37]                                   // 000000006ED8: BEFE0124
	v_mov_b32_e32 v6, v60                                      // 000000006EDC: 7E0C033C
	s_mov_b64 s[60:61], 0                                      // 000000006EE0: BEBC0180
	v_readlane_b32 s82, v3, 4                                  // 000000006EE4: D2890052 00010903
	s_and_b32 s82, s82, 0xffffff                               // 000000006EEC: 8652FF52 00FFFFFF
	s_cmp_lt_u32 s82, s66                                      // 000000006EF4: BF0A4252
	s_cselect_b32 s20, s36, s60                                // 000000006EF8: 85143C24
	v_readlane_b32 s82, v3, 5                                  // 000000006EFC: D2890052 00010B03
	s_and_b32 s82, s82, 0xffffff                               // 000000006F04: 8652FF52 00FFFFFF
	s_cmp_lt_u32 s82, s66                                      // 000000006F0C: BF0A4252
	s_cselect_b32 s21, s36, s60                                // 000000006F10: 85153C24
	s_mov_b64 exec, s[20:21]                                   // 000000006F14: BEFE0114
	global_atomic_add_f32 v6, v82, s[8:9] offset:8             // 000000006F18: DD348008 00085206
	s_mov_b64 exec, s[36:37]                                   // 000000006F20: BEFE0124
	v_mov_b32_e32 v6, v61                                      // 000000006F24: 7E0C033D
	s_mov_b64 s[60:61], 0                                      // 000000006F28: BEBC0180
	v_readlane_b32 s82, v3, 6                                  // 000000006F2C: D2890052 00010D03
	s_and_b32 s82, s82, 0xffffff                               // 000000006F34: 8652FF52 00FFFFFF
	s_cmp_lt_u32 s82, s66                                      // 000000006F3C: BF0A4252
	s_cselect_b32 s20, s36, s60                                // 000000006F40: 85143C24
	v_readlane_b32 s82, v3, 7                                  // 000000006F44: D2890052 00010F03
	s_and_b32 s82, s82, 0xffffff                               // 000000006F4C: 8652FF52 00FFFFFF
	s_cmp_lt_u32 s82, s66                                      // 000000006F54: BF0A4252
	s_cselect_b32 s21, s36, s60                                // 000000006F58: 85153C24
	s_mov_b64 exec, s[20:21]                                   // 000000006F5C: BEFE0114
	global_atomic_add_f32 v6, v83, s[8:9] offset:8             // 000000006F60: DD348008 00085306
	s_mov_b64 exec, s[36:37]                                   // 000000006F68: BEFE0124
	v_mov_b32_e32 v6, v62                                      // 000000006F6C: 7E0C033E
	s_mov_b64 s[60:61], 0                                      // 000000006F70: BEBC0180
	v_readlane_b32 s82, v3, 8                                  // 000000006F74: D2890052 00011103
	s_and_b32 s82, s82, 0xffffff                               // 000000006F7C: 8652FF52 00FFFFFF
	s_cmp_lt_u32 s82, s66                                      // 000000006F84: BF0A4252
	s_cselect_b32 s20, s36, s60                                // 000000006F88: 85143C24
	v_readlane_b32 s82, v3, 9                                  // 000000006F8C: D2890052 00011303
	s_and_b32 s82, s82, 0xffffff                               // 000000006F94: 8652FF52 00FFFFFF
	s_cmp_lt_u32 s82, s66                                      // 000000006F9C: BF0A4252
	s_cselect_b32 s21, s36, s60                                // 000000006FA0: 85153C24
	s_mov_b64 exec, s[20:21]                                   // 000000006FA4: BEFE0114
	global_atomic_add_f32 v6, v86, s[8:9] offset:8             // 000000006FA8: DD348008 00085606
	s_mov_b64 exec, s[36:37]                                   // 000000006FB0: BEFE0124
	v_mov_b32_e32 v6, v63                                      // 000000006FB4: 7E0C033F
	s_mov_b64 s[60:61], 0                                      // 000000006FB8: BEBC0180
	v_readlane_b32 s82, v3, 10                                 // 000000006FBC: D2890052 00011503
	s_and_b32 s82, s82, 0xffffff                               // 000000006FC4: 8652FF52 00FFFFFF
	s_cmp_lt_u32 s82, s66                                      // 000000006FCC: BF0A4252
	s_cselect_b32 s20, s36, s60                                // 000000006FD0: 85143C24
	v_readlane_b32 s82, v3, 11                                 // 000000006FD4: D2890052 00011703
	s_and_b32 s82, s82, 0xffffff                               // 000000006FDC: 8652FF52 00FFFFFF
	s_cmp_lt_u32 s82, s66                                      // 000000006FE4: BF0A4252
	s_cselect_b32 s21, s36, s60                                // 000000006FE8: 85153C24
	s_mov_b64 exec, s[20:21]                                   // 000000006FEC: BEFE0114
	global_atomic_add_f32 v6, v87, s[8:9] offset:8             // 000000006FF0: DD348008 00085706
	s_mov_b64 exec, s[36:37]                                   // 000000006FF8: BEFE0124
	v_mov_b32_e32 v6, v64                                      // 000000006FFC: 7E0C0340
	s_mov_b64 s[60:61], 0                                      // 000000007000: BEBC0180
	v_readlane_b32 s82, v3, 12                                 // 000000007004: D2890052 00011903
	s_and_b32 s82, s82, 0xffffff                               // 00000000700C: 8652FF52 00FFFFFF
	s_cmp_lt_u32 s82, s66                                      // 000000007014: BF0A4252
	s_cselect_b32 s20, s36, s60                                // 000000007018: 85143C24
	v_readlane_b32 s82, v3, 13                                 // 00000000701C: D2890052 00011B03
	s_and_b32 s82, s82, 0xffffff                               // 000000007024: 8652FF52 00FFFFFF
	s_cmp_lt_u32 s82, s66                                      // 00000000702C: BF0A4252
	s_cselect_b32 s21, s36, s60                                // 000000007030: 85153C24
	s_mov_b64 exec, s[20:21]                                   // 000000007034: BEFE0114
	global_atomic_add_f32 v6, v90, s[8:9] offset:8             // 000000007038: DD348008 00085A06
	s_mov_b64 exec, s[36:37]                                   // 000000007040: BEFE0124
	v_mov_b32_e32 v6, v65                                      // 000000007044: 7E0C0341
	s_mov_b64 s[60:61], 0                                      // 000000007048: BEBC0180
	v_readlane_b32 s82, v3, 14                                 // 00000000704C: D2890052 00011D03
	s_and_b32 s82, s82, 0xffffff                               // 000000007054: 8652FF52 00FFFFFF
	s_cmp_lt_u32 s82, s66                                      // 00000000705C: BF0A4252
	s_cselect_b32 s20, s36, s60                                // 000000007060: 85143C24
	v_readlane_b32 s82, v3, 15                                 // 000000007064: D2890052 00011F03
	s_and_b32 s82, s82, 0xffffff                               // 00000000706C: 8652FF52 00FFFFFF
	s_cmp_lt_u32 s82, s66                                      // 000000007074: BF0A4252
	s_cselect_b32 s21, s36, s60                                // 000000007078: 85153C24
	s_mov_b64 exec, s[20:21]                                   // 00000000707C: BEFE0114
	global_atomic_add_f32 v6, v91, s[8:9] offset:8             // 000000007080: DD348008 00085B06
	s_mov_b64 exec, s[36:37]                                   // 000000007088: BEFE0124
	v_mov_b32_e32 v6, v66                                      // 00000000708C: 7E0C0342
	s_mov_b64 s[60:61], 0                                      // 000000007090: BEBC0180
	v_readlane_b32 s82, v3, 16                                 // 000000007094: D2890052 00012103
	s_and_b32 s82, s82, 0xffffff                               // 00000000709C: 8652FF52 00FFFFFF
	s_cmp_lt_u32 s82, s66                                      // 0000000070A4: BF0A4252
	s_cselect_b32 s20, s36, s60                                // 0000000070A8: 85143C24
	v_readlane_b32 s82, v3, 17                                 // 0000000070AC: D2890052 00012303
	s_and_b32 s82, s82, 0xffffff                               // 0000000070B4: 8652FF52 00FFFFFF
	s_cmp_lt_u32 s82, s66                                      // 0000000070BC: BF0A4252
	s_cselect_b32 s21, s36, s60                                // 0000000070C0: 85153C24
	s_mov_b64 exec, s[20:21]                                   // 0000000070C4: BEFE0114
	global_atomic_add_f32 v6, v94, s[8:9] offset:8             // 0000000070C8: DD348008 00085E06
	s_mov_b64 exec, s[36:37]                                   // 0000000070D0: BEFE0124
	v_mov_b32_e32 v6, v67                                      // 0000000070D4: 7E0C0343
	s_mov_b64 s[60:61], 0                                      // 0000000070D8: BEBC0180
	v_readlane_b32 s82, v3, 18                                 // 0000000070DC: D2890052 00012503
	s_and_b32 s82, s82, 0xffffff                               // 0000000070E4: 8652FF52 00FFFFFF
	s_cmp_lt_u32 s82, s66                                      // 0000000070EC: BF0A4252
	s_cselect_b32 s20, s36, s60                                // 0000000070F0: 85143C24
	v_readlane_b32 s82, v3, 19                                 // 0000000070F4: D2890052 00012703
	s_and_b32 s82, s82, 0xffffff                               // 0000000070FC: 8652FF52 00FFFFFF
	s_cmp_lt_u32 s82, s66                                      // 000000007104: BF0A4252
	s_cselect_b32 s21, s36, s60                                // 000000007108: 85153C24
	s_mov_b64 exec, s[20:21]                                   // 00000000710C: BEFE0114
	global_atomic_add_f32 v6, v95, s[8:9] offset:8             // 000000007110: DD348008 00085F06
	s_mov_b64 exec, s[36:37]                                   // 000000007118: BEFE0124
	v_mov_b32_e32 v6, v68                                      // 00000000711C: 7E0C0344
	s_mov_b64 s[60:61], 0                                      // 000000007120: BEBC0180
	v_readlane_b32 s82, v3, 20                                 // 000000007124: D2890052 00012903
	s_and_b32 s82, s82, 0xffffff                               // 00000000712C: 8652FF52 00FFFFFF
	s_cmp_lt_u32 s82, s66                                      // 000000007134: BF0A4252
	s_cselect_b32 s20, s36, s60                                // 000000007138: 85143C24
	v_readlane_b32 s82, v3, 21                                 // 00000000713C: D2890052 00012B03
	s_and_b32 s82, s82, 0xffffff                               // 000000007144: 8652FF52 00FFFFFF
	s_cmp_lt_u32 s82, s66                                      // 00000000714C: BF0A4252
	s_cselect_b32 s21, s36, s60                                // 000000007150: 85153C24
	s_mov_b64 exec, s[20:21]                                   // 000000007154: BEFE0114
	global_atomic_add_f32 v6, v98, s[8:9] offset:8             // 000000007158: DD348008 00086206
	s_mov_b64 exec, s[36:37]                                   // 000000007160: BEFE0124
	v_mov_b32_e32 v6, v69                                      // 000000007164: 7E0C0345
	s_mov_b64 s[60:61], 0                                      // 000000007168: BEBC0180
	v_readlane_b32 s82, v3, 22                                 // 00000000716C: D2890052 00012D03
	s_and_b32 s82, s82, 0xffffff                               // 000000007174: 8652FF52 00FFFFFF
	s_cmp_lt_u32 s82, s66                                      // 00000000717C: BF0A4252
	s_cselect_b32 s20, s36, s60                                // 000000007180: 85143C24
	v_readlane_b32 s82, v3, 23                                 // 000000007184: D2890052 00012F03
	s_and_b32 s82, s82, 0xffffff                               // 00000000718C: 8652FF52 00FFFFFF
	s_cmp_lt_u32 s82, s66                                      // 000000007194: BF0A4252
	s_cselect_b32 s21, s36, s60                                // 000000007198: 85153C24
	s_mov_b64 exec, s[20:21]                                   // 00000000719C: BEFE0114
	global_atomic_add_f32 v6, v99, s[8:9] offset:8             // 0000000071A0: DD348008 00086306
	s_mov_b64 exec, s[36:37]                                   // 0000000071A8: BEFE0124
	v_mov_b32_e32 v6, v70                                      // 0000000071AC: 7E0C0346
	s_mov_b64 s[60:61], 0                                      // 0000000071B0: BEBC0180
	v_readlane_b32 s82, v3, 24                                 // 0000000071B4: D2890052 00013103
	s_and_b32 s82, s82, 0xffffff                               // 0000000071BC: 8652FF52 00FFFFFF
	s_cmp_lt_u32 s82, s66                                      // 0000000071C4: BF0A4252
	s_cselect_b32 s20, s36, s60                                // 0000000071C8: 85143C24
	v_readlane_b32 s82, v3, 25                                 // 0000000071CC: D2890052 00013303
	s_and_b32 s82, s82, 0xffffff                               // 0000000071D4: 8652FF52 00FFFFFF
	s_cmp_lt_u32 s82, s66                                      // 0000000071DC: BF0A4252
	s_cselect_b32 s21, s36, s60                                // 0000000071E0: 85153C24
	s_mov_b64 exec, s[20:21]                                   // 0000000071E4: BEFE0114
	global_atomic_add_f32 v6, v102, s[8:9] offset:8            // 0000000071E8: DD348008 00086606
	s_mov_b64 exec, s[36:37]                                   // 0000000071F0: BEFE0124
	v_mov_b32_e32 v6, v71                                      // 0000000071F4: 7E0C0347
	s_mov_b64 s[60:61], 0                                      // 0000000071F8: BEBC0180
	v_readlane_b32 s82, v3, 26                                 // 0000000071FC: D2890052 00013503
	s_and_b32 s82, s82, 0xffffff                               // 000000007204: 8652FF52 00FFFFFF
	s_cmp_lt_u32 s82, s66                                      // 00000000720C: BF0A4252
	s_cselect_b32 s20, s36, s60                                // 000000007210: 85143C24
	v_readlane_b32 s82, v3, 27                                 // 000000007214: D2890052 00013703
	s_and_b32 s82, s82, 0xffffff                               // 00000000721C: 8652FF52 00FFFFFF
	s_cmp_lt_u32 s82, s66                                      // 000000007224: BF0A4252
	s_cselect_b32 s21, s36, s60                                // 000000007228: 85153C24
	s_mov_b64 exec, s[20:21]                                   // 00000000722C: BEFE0114
	global_atomic_add_f32 v6, v103, s[8:9] offset:8            // 000000007230: DD348008 00086706
	s_mov_b64 exec, s[36:37]                                   // 000000007238: BEFE0124
	ds_write_b64 v20, v[104:105]                               // 00000000723C: D89A0000 00006814
	ds_write_b64 v20, v[108:109] offset:2176                   // 000000007244: D89A0880 00006C14
	ds_write_b64 v20, v[112:113] offset:4352                   // 00000000724C: D89A1100 00007014
	ds_write_b64 v20, v[116:117] offset:6528                   // 000000007254: D89A1980 00007414
	ds_write_b64 v20, v[120:121] offset:8704                   // 00000000725C: D89A2200 00007814
	ds_write_b64 v20, v[124:125] offset:10880                  // 000000007264: D89A2A80 00007C14
	ds_write_b64 v20, v[128:129] offset:13056                  // 00000000726C: D89A3300 00008014
	s_waitcnt lgkmcnt(0)                                       // 000000007274: BF8CC07F
	s_barrier                                                  // 000000007278: BF8A0000
	ds_read_b32 v104, v21                                      // 00000000727C: D86C0000 68000015
	ds_read_b32 v105, v21 offset:64                            // 000000007284: D86C0040 69000015
	ds_read_b32 v108, v21 offset:2176                          // 00000000728C: D86C0880 6C000015
	ds_read_b32 v109, v21 offset:2240                          // 000000007294: D86C08C0 6D000015
	ds_read_b32 v112, v21 offset:4352                          // 00000000729C: D86C1100 70000015
	ds_read_b32 v113, v21 offset:4416                          // 0000000072A4: D86C1140 71000015
	ds_read_b32 v116, v21 offset:6528                          // 0000000072AC: D86C1980 74000015
	ds_read_b32 v117, v21 offset:6592                          // 0000000072B4: D86C19C0 75000015
	ds_read_b32 v120, v21 offset:8704                          // 0000000072BC: D86C2200 78000015
	ds_read_b32 v121, v21 offset:8768                          // 0000000072C4: D86C2240 79000015
	ds_read_b32 v124, v21 offset:10880                         // 0000000072CC: D86C2A80 7C000015
	ds_read_b32 v125, v21 offset:10944                         // 0000000072D4: D86C2AC0 7D000015
	ds_read_b32 v128, v21 offset:13056                         // 0000000072DC: D86C3300 80000015
	ds_read_b32 v129, v21 offset:13120                         // 0000000072E4: D86C3340 81000015
	s_mul_i32 s60, s65, 4                                      // 0000000072EC: 923C8441
	s_add_u32 s8, s60, s8                                      // 0000000072F0: 8008083C
	s_addc_u32 s9, 0, s9                                       // 0000000072F4: 82090980
	s_waitcnt lgkmcnt(0)                                       // 0000000072F8: BF8CC07F
	v_mov_b32_e32 v7, 0                                        // 0000000072FC: 7E0E0280
	s_mov_b64 exec, s[36:37]                                   // 000000007300: BEFE0124
	v_mov_b32_e32 v6, v58                                      // 000000007304: 7E0C033A
	s_mov_b64 s[60:61], 0                                      // 000000007308: BEBC0180
	v_readlane_b32 s82, v3, 0                                  // 00000000730C: D2890052 00010103
	s_and_b32 s82, s82, 0xffffff                               // 000000007314: 8652FF52 00FFFFFF
	s_cmp_lt_u32 s82, s66                                      // 00000000731C: BF0A4252
	s_cselect_b32 s20, s36, s60                                // 000000007320: 85143C24
	v_readlane_b32 s82, v3, 1                                  // 000000007324: D2890052 00010303
	s_and_b32 s82, s82, 0xffffff                               // 00000000732C: 8652FF52 00FFFFFF
	s_cmp_lt_u32 s82, s66                                      // 000000007334: BF0A4252
	s_cselect_b32 s21, s36, s60                                // 000000007338: 85153C24
	s_mov_b64 exec, s[20:21]                                   // 00000000733C: BEFE0114
	global_atomic_add_f32 v6, v104, s[8:9]                     // 000000007340: DD348000 00086806
	s_mov_b64 exec, s[36:37]                                   // 000000007348: BEFE0124
	v_mov_b32_e32 v6, v59                                      // 00000000734C: 7E0C033B
	s_mov_b64 s[60:61], 0                                      // 000000007350: BEBC0180
	v_readlane_b32 s82, v3, 2                                  // 000000007354: D2890052 00010503
	s_and_b32 s82, s82, 0xffffff                               // 00000000735C: 8652FF52 00FFFFFF
	s_cmp_lt_u32 s82, s66                                      // 000000007364: BF0A4252
	s_cselect_b32 s20, s36, s60                                // 000000007368: 85143C24
	v_readlane_b32 s82, v3, 3                                  // 00000000736C: D2890052 00010703
	s_and_b32 s82, s82, 0xffffff                               // 000000007374: 8652FF52 00FFFFFF
	s_cmp_lt_u32 s82, s66                                      // 00000000737C: BF0A4252
	s_cselect_b32 s21, s36, s60                                // 000000007380: 85153C24
	s_mov_b64 exec, s[20:21]                                   // 000000007384: BEFE0114
	global_atomic_add_f32 v6, v105, s[8:9]                     // 000000007388: DD348000 00086906
	s_mov_b64 exec, s[36:37]                                   // 000000007390: BEFE0124
	v_mov_b32_e32 v6, v60                                      // 000000007394: 7E0C033C
	s_mov_b64 s[60:61], 0                                      // 000000007398: BEBC0180
	v_readlane_b32 s82, v3, 4                                  // 00000000739C: D2890052 00010903
	s_and_b32 s82, s82, 0xffffff                               // 0000000073A4: 8652FF52 00FFFFFF
	s_cmp_lt_u32 s82, s66                                      // 0000000073AC: BF0A4252
	s_cselect_b32 s20, s36, s60                                // 0000000073B0: 85143C24
	v_readlane_b32 s82, v3, 5                                  // 0000000073B4: D2890052 00010B03
	s_and_b32 s82, s82, 0xffffff                               // 0000000073BC: 8652FF52 00FFFFFF
	s_cmp_lt_u32 s82, s66                                      // 0000000073C4: BF0A4252
	s_cselect_b32 s21, s36, s60                                // 0000000073C8: 85153C24
	s_mov_b64 exec, s[20:21]                                   // 0000000073CC: BEFE0114
	global_atomic_add_f32 v6, v108, s[8:9]                     // 0000000073D0: DD348000 00086C06
	s_mov_b64 exec, s[36:37]                                   // 0000000073D8: BEFE0124
	v_mov_b32_e32 v6, v61                                      // 0000000073DC: 7E0C033D
	s_mov_b64 s[60:61], 0                                      // 0000000073E0: BEBC0180
	v_readlane_b32 s82, v3, 6                                  // 0000000073E4: D2890052 00010D03
	s_and_b32 s82, s82, 0xffffff                               // 0000000073EC: 8652FF52 00FFFFFF
	s_cmp_lt_u32 s82, s66                                      // 0000000073F4: BF0A4252
	s_cselect_b32 s20, s36, s60                                // 0000000073F8: 85143C24
	v_readlane_b32 s82, v3, 7                                  // 0000000073FC: D2890052 00010F03
	s_and_b32 s82, s82, 0xffffff                               // 000000007404: 8652FF52 00FFFFFF
	s_cmp_lt_u32 s82, s66                                      // 00000000740C: BF0A4252
	s_cselect_b32 s21, s36, s60                                // 000000007410: 85153C24
	s_mov_b64 exec, s[20:21]                                   // 000000007414: BEFE0114
	global_atomic_add_f32 v6, v109, s[8:9]                     // 000000007418: DD348000 00086D06
	s_mov_b64 exec, s[36:37]                                   // 000000007420: BEFE0124
	v_mov_b32_e32 v6, v62                                      // 000000007424: 7E0C033E
	s_mov_b64 s[60:61], 0                                      // 000000007428: BEBC0180
	v_readlane_b32 s82, v3, 8                                  // 00000000742C: D2890052 00011103
	s_and_b32 s82, s82, 0xffffff                               // 000000007434: 8652FF52 00FFFFFF
	s_cmp_lt_u32 s82, s66                                      // 00000000743C: BF0A4252
	s_cselect_b32 s20, s36, s60                                // 000000007440: 85143C24
	v_readlane_b32 s82, v3, 9                                  // 000000007444: D2890052 00011303
	s_and_b32 s82, s82, 0xffffff                               // 00000000744C: 8652FF52 00FFFFFF
	s_cmp_lt_u32 s82, s66                                      // 000000007454: BF0A4252
	s_cselect_b32 s21, s36, s60                                // 000000007458: 85153C24
	s_mov_b64 exec, s[20:21]                                   // 00000000745C: BEFE0114
	global_atomic_add_f32 v6, v112, s[8:9]                     // 000000007460: DD348000 00087006
	s_mov_b64 exec, s[36:37]                                   // 000000007468: BEFE0124
	v_mov_b32_e32 v6, v63                                      // 00000000746C: 7E0C033F
	s_mov_b64 s[60:61], 0                                      // 000000007470: BEBC0180
	v_readlane_b32 s82, v3, 10                                 // 000000007474: D2890052 00011503
	s_and_b32 s82, s82, 0xffffff                               // 00000000747C: 8652FF52 00FFFFFF
	s_cmp_lt_u32 s82, s66                                      // 000000007484: BF0A4252
	s_cselect_b32 s20, s36, s60                                // 000000007488: 85143C24
	v_readlane_b32 s82, v3, 11                                 // 00000000748C: D2890052 00011703
	s_and_b32 s82, s82, 0xffffff                               // 000000007494: 8652FF52 00FFFFFF
	s_cmp_lt_u32 s82, s66                                      // 00000000749C: BF0A4252
	s_cselect_b32 s21, s36, s60                                // 0000000074A0: 85153C24
	s_mov_b64 exec, s[20:21]                                   // 0000000074A4: BEFE0114
	global_atomic_add_f32 v6, v113, s[8:9]                     // 0000000074A8: DD348000 00087106
	s_mov_b64 exec, s[36:37]                                   // 0000000074B0: BEFE0124
	v_mov_b32_e32 v6, v64                                      // 0000000074B4: 7E0C0340
	s_mov_b64 s[60:61], 0                                      // 0000000074B8: BEBC0180
	v_readlane_b32 s82, v3, 12                                 // 0000000074BC: D2890052 00011903
	s_and_b32 s82, s82, 0xffffff                               // 0000000074C4: 8652FF52 00FFFFFF
	s_cmp_lt_u32 s82, s66                                      // 0000000074CC: BF0A4252
	s_cselect_b32 s20, s36, s60                                // 0000000074D0: 85143C24
	v_readlane_b32 s82, v3, 13                                 // 0000000074D4: D2890052 00011B03
	s_and_b32 s82, s82, 0xffffff                               // 0000000074DC: 8652FF52 00FFFFFF
	s_cmp_lt_u32 s82, s66                                      // 0000000074E4: BF0A4252
	s_cselect_b32 s21, s36, s60                                // 0000000074E8: 85153C24
	s_mov_b64 exec, s[20:21]                                   // 0000000074EC: BEFE0114
	global_atomic_add_f32 v6, v116, s[8:9]                     // 0000000074F0: DD348000 00087406
	s_mov_b64 exec, s[36:37]                                   // 0000000074F8: BEFE0124
	v_mov_b32_e32 v6, v65                                      // 0000000074FC: 7E0C0341
	s_mov_b64 s[60:61], 0                                      // 000000007500: BEBC0180
	v_readlane_b32 s82, v3, 14                                 // 000000007504: D2890052 00011D03
	s_and_b32 s82, s82, 0xffffff                               // 00000000750C: 8652FF52 00FFFFFF
	s_cmp_lt_u32 s82, s66                                      // 000000007514: BF0A4252
	s_cselect_b32 s20, s36, s60                                // 000000007518: 85143C24
	v_readlane_b32 s82, v3, 15                                 // 00000000751C: D2890052 00011F03
	s_and_b32 s82, s82, 0xffffff                               // 000000007524: 8652FF52 00FFFFFF
	s_cmp_lt_u32 s82, s66                                      // 00000000752C: BF0A4252
	s_cselect_b32 s21, s36, s60                                // 000000007530: 85153C24
	s_mov_b64 exec, s[20:21]                                   // 000000007534: BEFE0114
	global_atomic_add_f32 v6, v117, s[8:9]                     // 000000007538: DD348000 00087506
	s_mov_b64 exec, s[36:37]                                   // 000000007540: BEFE0124
	v_mov_b32_e32 v6, v66                                      // 000000007544: 7E0C0342
	s_mov_b64 s[60:61], 0                                      // 000000007548: BEBC0180
	v_readlane_b32 s82, v3, 16                                 // 00000000754C: D2890052 00012103
	s_and_b32 s82, s82, 0xffffff                               // 000000007554: 8652FF52 00FFFFFF
	s_cmp_lt_u32 s82, s66                                      // 00000000755C: BF0A4252
	s_cselect_b32 s20, s36, s60                                // 000000007560: 85143C24
	v_readlane_b32 s82, v3, 17                                 // 000000007564: D2890052 00012303
	s_and_b32 s82, s82, 0xffffff                               // 00000000756C: 8652FF52 00FFFFFF
	s_cmp_lt_u32 s82, s66                                      // 000000007574: BF0A4252
	s_cselect_b32 s21, s36, s60                                // 000000007578: 85153C24
	s_mov_b64 exec, s[20:21]                                   // 00000000757C: BEFE0114
	global_atomic_add_f32 v6, v120, s[8:9]                     // 000000007580: DD348000 00087806
	s_mov_b64 exec, s[36:37]                                   // 000000007588: BEFE0124
	v_mov_b32_e32 v6, v67                                      // 00000000758C: 7E0C0343
	s_mov_b64 s[60:61], 0                                      // 000000007590: BEBC0180
	v_readlane_b32 s82, v3, 18                                 // 000000007594: D2890052 00012503
	s_and_b32 s82, s82, 0xffffff                               // 00000000759C: 8652FF52 00FFFFFF
	s_cmp_lt_u32 s82, s66                                      // 0000000075A4: BF0A4252
	s_cselect_b32 s20, s36, s60                                // 0000000075A8: 85143C24
	v_readlane_b32 s82, v3, 19                                 // 0000000075AC: D2890052 00012703
	s_and_b32 s82, s82, 0xffffff                               // 0000000075B4: 8652FF52 00FFFFFF
	s_cmp_lt_u32 s82, s66                                      // 0000000075BC: BF0A4252
	s_cselect_b32 s21, s36, s60                                // 0000000075C0: 85153C24
	s_mov_b64 exec, s[20:21]                                   // 0000000075C4: BEFE0114
	global_atomic_add_f32 v6, v121, s[8:9]                     // 0000000075C8: DD348000 00087906
	s_mov_b64 exec, s[36:37]                                   // 0000000075D0: BEFE0124
	v_mov_b32_e32 v6, v68                                      // 0000000075D4: 7E0C0344
	s_mov_b64 s[60:61], 0                                      // 0000000075D8: BEBC0180
	v_readlane_b32 s82, v3, 20                                 // 0000000075DC: D2890052 00012903
	s_and_b32 s82, s82, 0xffffff                               // 0000000075E4: 8652FF52 00FFFFFF
	s_cmp_lt_u32 s82, s66                                      // 0000000075EC: BF0A4252
	s_cselect_b32 s20, s36, s60                                // 0000000075F0: 85143C24
	v_readlane_b32 s82, v3, 21                                 // 0000000075F4: D2890052 00012B03
	s_and_b32 s82, s82, 0xffffff                               // 0000000075FC: 8652FF52 00FFFFFF
	s_cmp_lt_u32 s82, s66                                      // 000000007604: BF0A4252
	s_cselect_b32 s21, s36, s60                                // 000000007608: 85153C24
	s_mov_b64 exec, s[20:21]                                   // 00000000760C: BEFE0114
	global_atomic_add_f32 v6, v124, s[8:9]                     // 000000007610: DD348000 00087C06
	s_mov_b64 exec, s[36:37]                                   // 000000007618: BEFE0124
	v_mov_b32_e32 v6, v69                                      // 00000000761C: 7E0C0345
	s_mov_b64 s[60:61], 0                                      // 000000007620: BEBC0180
	v_readlane_b32 s82, v3, 22                                 // 000000007624: D2890052 00012D03
	s_and_b32 s82, s82, 0xffffff                               // 00000000762C: 8652FF52 00FFFFFF
	s_cmp_lt_u32 s82, s66                                      // 000000007634: BF0A4252
	s_cselect_b32 s20, s36, s60                                // 000000007638: 85143C24
	v_readlane_b32 s82, v3, 23                                 // 00000000763C: D2890052 00012F03
	s_and_b32 s82, s82, 0xffffff                               // 000000007644: 8652FF52 00FFFFFF
	s_cmp_lt_u32 s82, s66                                      // 00000000764C: BF0A4252
	s_cselect_b32 s21, s36, s60                                // 000000007650: 85153C24
	s_mov_b64 exec, s[20:21]                                   // 000000007654: BEFE0114
	global_atomic_add_f32 v6, v125, s[8:9]                     // 000000007658: DD348000 00087D06
	s_mov_b64 exec, s[36:37]                                   // 000000007660: BEFE0124
	v_mov_b32_e32 v6, v70                                      // 000000007664: 7E0C0346
	s_mov_b64 s[60:61], 0                                      // 000000007668: BEBC0180
	v_readlane_b32 s82, v3, 24                                 // 00000000766C: D2890052 00013103
	s_and_b32 s82, s82, 0xffffff                               // 000000007674: 8652FF52 00FFFFFF
	s_cmp_lt_u32 s82, s66                                      // 00000000767C: BF0A4252
	s_cselect_b32 s20, s36, s60                                // 000000007680: 85143C24
	v_readlane_b32 s82, v3, 25                                 // 000000007684: D2890052 00013303
	s_and_b32 s82, s82, 0xffffff                               // 00000000768C: 8652FF52 00FFFFFF
	s_cmp_lt_u32 s82, s66                                      // 000000007694: BF0A4252
	s_cselect_b32 s21, s36, s60                                // 000000007698: 85153C24
	s_mov_b64 exec, s[20:21]                                   // 00000000769C: BEFE0114
	global_atomic_add_f32 v6, v128, s[8:9]                     // 0000000076A0: DD348000 00088006
	s_mov_b64 exec, s[36:37]                                   // 0000000076A8: BEFE0124
	v_mov_b32_e32 v6, v71                                      // 0000000076AC: 7E0C0347
	s_mov_b64 s[60:61], 0                                      // 0000000076B0: BEBC0180
	v_readlane_b32 s82, v3, 26                                 // 0000000076B4: D2890052 00013503
	s_and_b32 s82, s82, 0xffffff                               // 0000000076BC: 8652FF52 00FFFFFF
	s_cmp_lt_u32 s82, s66                                      // 0000000076C4: BF0A4252
	s_cselect_b32 s20, s36, s60                                // 0000000076C8: 85143C24
	v_readlane_b32 s82, v3, 27                                 // 0000000076CC: D2890052 00013703
	s_and_b32 s82, s82, 0xffffff                               // 0000000076D4: 8652FF52 00FFFFFF
	s_cmp_lt_u32 s82, s66                                      // 0000000076DC: BF0A4252
	s_cselect_b32 s21, s36, s60                                // 0000000076E0: 85153C24
	s_mov_b64 exec, s[20:21]                                   // 0000000076E4: BEFE0114
	global_atomic_add_f32 v6, v129, s[8:9]                     // 0000000076E8: DD348000 00088106
	s_mov_b64 exec, s[36:37]                                   // 0000000076F0: BEFE0124
	ds_write_b64 v20, v[106:107]                               // 0000000076F4: D89A0000 00006A14
	ds_write_b64 v20, v[110:111] offset:2176                   // 0000000076FC: D89A0880 00006E14
	ds_write_b64 v20, v[114:115] offset:4352                   // 000000007704: D89A1100 00007214
	ds_write_b64 v20, v[118:119] offset:6528                   // 00000000770C: D89A1980 00007614
	ds_write_b64 v20, v[122:123] offset:8704                   // 000000007714: D89A2200 00007A14
	ds_write_b64 v20, v[126:127] offset:10880                  // 00000000771C: D89A2A80 00007E14
	ds_write_b64 v20, v[130:131] offset:13056                  // 000000007724: D89A3300 00008214
	s_waitcnt lgkmcnt(0)                                       // 00000000772C: BF8CC07F
	s_barrier                                                  // 000000007730: BF8A0000
	ds_read_b32 v106, v21                                      // 000000007734: D86C0000 6A000015
	ds_read_b32 v107, v21 offset:64                            // 00000000773C: D86C0040 6B000015
	ds_read_b32 v110, v21 offset:2176                          // 000000007744: D86C0880 6E000015
	ds_read_b32 v111, v21 offset:2240                          // 00000000774C: D86C08C0 6F000015
	ds_read_b32 v114, v21 offset:4352                          // 000000007754: D86C1100 72000015
	ds_read_b32 v115, v21 offset:4416                          // 00000000775C: D86C1140 73000015
	ds_read_b32 v118, v21 offset:6528                          // 000000007764: D86C1980 76000015
	ds_read_b32 v119, v21 offset:6592                          // 00000000776C: D86C19C0 77000015
	ds_read_b32 v122, v21 offset:8704                          // 000000007774: D86C2200 7A000015
	ds_read_b32 v123, v21 offset:8768                          // 00000000777C: D86C2240 7B000015
	ds_read_b32 v126, v21 offset:10880                         // 000000007784: D86C2A80 7E000015
	ds_read_b32 v127, v21 offset:10944                         // 00000000778C: D86C2AC0 7F000015
	ds_read_b32 v130, v21 offset:13056                         // 000000007794: D86C3300 82000015
	ds_read_b32 v131, v21 offset:13120                         // 00000000779C: D86C3340 83000015
	s_waitcnt lgkmcnt(0)                                       // 0000000077A4: BF8CC07F
	v_mov_b32_e32 v7, 0                                        // 0000000077A8: 7E0E0280
	s_mov_b64 exec, s[36:37]                                   // 0000000077AC: BEFE0124
	v_mov_b32_e32 v6, v58                                      // 0000000077B0: 7E0C033A
	s_mov_b64 s[60:61], 0                                      // 0000000077B4: BEBC0180
	v_readlane_b32 s82, v3, 0                                  // 0000000077B8: D2890052 00010103
	s_and_b32 s82, s82, 0xffffff                               // 0000000077C0: 8652FF52 00FFFFFF
	s_cmp_lt_u32 s82, s66                                      // 0000000077C8: BF0A4252
	s_cselect_b32 s20, s36, s60                                // 0000000077CC: 85143C24
	v_readlane_b32 s82, v3, 1                                  // 0000000077D0: D2890052 00010303
	s_and_b32 s82, s82, 0xffffff                               // 0000000077D8: 8652FF52 00FFFFFF
	s_cmp_lt_u32 s82, s66                                      // 0000000077E0: BF0A4252
	s_cselect_b32 s21, s36, s60                                // 0000000077E4: 85153C24
	s_mov_b64 exec, s[20:21]                                   // 0000000077E8: BEFE0114
	global_atomic_add_f32 v6, v106, s[8:9] offset:8            // 0000000077EC: DD348008 00086A06
	s_mov_b64 exec, s[36:37]                                   // 0000000077F4: BEFE0124
	v_mov_b32_e32 v6, v59                                      // 0000000077F8: 7E0C033B
	s_mov_b64 s[60:61], 0                                      // 0000000077FC: BEBC0180
	v_readlane_b32 s82, v3, 2                                  // 000000007800: D2890052 00010503
	s_and_b32 s82, s82, 0xffffff                               // 000000007808: 8652FF52 00FFFFFF
	s_cmp_lt_u32 s82, s66                                      // 000000007810: BF0A4252
	s_cselect_b32 s20, s36, s60                                // 000000007814: 85143C24
	v_readlane_b32 s82, v3, 3                                  // 000000007818: D2890052 00010703
	s_and_b32 s82, s82, 0xffffff                               // 000000007820: 8652FF52 00FFFFFF
	s_cmp_lt_u32 s82, s66                                      // 000000007828: BF0A4252
	s_cselect_b32 s21, s36, s60                                // 00000000782C: 85153C24
	s_mov_b64 exec, s[20:21]                                   // 000000007830: BEFE0114
	global_atomic_add_f32 v6, v107, s[8:9] offset:8            // 000000007834: DD348008 00086B06
	s_mov_b64 exec, s[36:37]                                   // 00000000783C: BEFE0124
	v_mov_b32_e32 v6, v60                                      // 000000007840: 7E0C033C
	s_mov_b64 s[60:61], 0                                      // 000000007844: BEBC0180
	v_readlane_b32 s82, v3, 4                                  // 000000007848: D2890052 00010903
	s_and_b32 s82, s82, 0xffffff                               // 000000007850: 8652FF52 00FFFFFF
	s_cmp_lt_u32 s82, s66                                      // 000000007858: BF0A4252
	s_cselect_b32 s20, s36, s60                                // 00000000785C: 85143C24
	v_readlane_b32 s82, v3, 5                                  // 000000007860: D2890052 00010B03
	s_and_b32 s82, s82, 0xffffff                               // 000000007868: 8652FF52 00FFFFFF
	s_cmp_lt_u32 s82, s66                                      // 000000007870: BF0A4252
	s_cselect_b32 s21, s36, s60                                // 000000007874: 85153C24
	s_mov_b64 exec, s[20:21]                                   // 000000007878: BEFE0114
	global_atomic_add_f32 v6, v110, s[8:9] offset:8            // 00000000787C: DD348008 00086E06
	s_mov_b64 exec, s[36:37]                                   // 000000007884: BEFE0124
	v_mov_b32_e32 v6, v61                                      // 000000007888: 7E0C033D
	s_mov_b64 s[60:61], 0                                      // 00000000788C: BEBC0180
	v_readlane_b32 s82, v3, 6                                  // 000000007890: D2890052 00010D03
	s_and_b32 s82, s82, 0xffffff                               // 000000007898: 8652FF52 00FFFFFF
	s_cmp_lt_u32 s82, s66                                      // 0000000078A0: BF0A4252
	s_cselect_b32 s20, s36, s60                                // 0000000078A4: 85143C24
	v_readlane_b32 s82, v3, 7                                  // 0000000078A8: D2890052 00010F03
	s_and_b32 s82, s82, 0xffffff                               // 0000000078B0: 8652FF52 00FFFFFF
	s_cmp_lt_u32 s82, s66                                      // 0000000078B8: BF0A4252
	s_cselect_b32 s21, s36, s60                                // 0000000078BC: 85153C24
	s_mov_b64 exec, s[20:21]                                   // 0000000078C0: BEFE0114
	global_atomic_add_f32 v6, v111, s[8:9] offset:8            // 0000000078C4: DD348008 00086F06
	s_mov_b64 exec, s[36:37]                                   // 0000000078CC: BEFE0124
	v_mov_b32_e32 v6, v62                                      // 0000000078D0: 7E0C033E
	s_mov_b64 s[60:61], 0                                      // 0000000078D4: BEBC0180
	v_readlane_b32 s82, v3, 8                                  // 0000000078D8: D2890052 00011103
	s_and_b32 s82, s82, 0xffffff                               // 0000000078E0: 8652FF52 00FFFFFF
	s_cmp_lt_u32 s82, s66                                      // 0000000078E8: BF0A4252
	s_cselect_b32 s20, s36, s60                                // 0000000078EC: 85143C24
	v_readlane_b32 s82, v3, 9                                  // 0000000078F0: D2890052 00011303
	s_and_b32 s82, s82, 0xffffff                               // 0000000078F8: 8652FF52 00FFFFFF
	s_cmp_lt_u32 s82, s66                                      // 000000007900: BF0A4252
	s_cselect_b32 s21, s36, s60                                // 000000007904: 85153C24
	s_mov_b64 exec, s[20:21]                                   // 000000007908: BEFE0114
	global_atomic_add_f32 v6, v114, s[8:9] offset:8            // 00000000790C: DD348008 00087206
	s_mov_b64 exec, s[36:37]                                   // 000000007914: BEFE0124
	v_mov_b32_e32 v6, v63                                      // 000000007918: 7E0C033F
	s_mov_b64 s[60:61], 0                                      // 00000000791C: BEBC0180
	v_readlane_b32 s82, v3, 10                                 // 000000007920: D2890052 00011503
	s_and_b32 s82, s82, 0xffffff                               // 000000007928: 8652FF52 00FFFFFF
	s_cmp_lt_u32 s82, s66                                      // 000000007930: BF0A4252
	s_cselect_b32 s20, s36, s60                                // 000000007934: 85143C24
	v_readlane_b32 s82, v3, 11                                 // 000000007938: D2890052 00011703
	s_and_b32 s82, s82, 0xffffff                               // 000000007940: 8652FF52 00FFFFFF
	s_cmp_lt_u32 s82, s66                                      // 000000007948: BF0A4252
	s_cselect_b32 s21, s36, s60                                // 00000000794C: 85153C24
	s_mov_b64 exec, s[20:21]                                   // 000000007950: BEFE0114
	global_atomic_add_f32 v6, v115, s[8:9] offset:8            // 000000007954: DD348008 00087306
	s_mov_b64 exec, s[36:37]                                   // 00000000795C: BEFE0124
	v_mov_b32_e32 v6, v64                                      // 000000007960: 7E0C0340
	s_mov_b64 s[60:61], 0                                      // 000000007964: BEBC0180
	v_readlane_b32 s82, v3, 12                                 // 000000007968: D2890052 00011903
	s_and_b32 s82, s82, 0xffffff                               // 000000007970: 8652FF52 00FFFFFF
	s_cmp_lt_u32 s82, s66                                      // 000000007978: BF0A4252
	s_cselect_b32 s20, s36, s60                                // 00000000797C: 85143C24
	v_readlane_b32 s82, v3, 13                                 // 000000007980: D2890052 00011B03
	s_and_b32 s82, s82, 0xffffff                               // 000000007988: 8652FF52 00FFFFFF
	s_cmp_lt_u32 s82, s66                                      // 000000007990: BF0A4252
	s_cselect_b32 s21, s36, s60                                // 000000007994: 85153C24
	s_mov_b64 exec, s[20:21]                                   // 000000007998: BEFE0114
	global_atomic_add_f32 v6, v118, s[8:9] offset:8            // 00000000799C: DD348008 00087606
	s_mov_b64 exec, s[36:37]                                   // 0000000079A4: BEFE0124
	v_mov_b32_e32 v6, v65                                      // 0000000079A8: 7E0C0341
	s_mov_b64 s[60:61], 0                                      // 0000000079AC: BEBC0180
	v_readlane_b32 s82, v3, 14                                 // 0000000079B0: D2890052 00011D03
	s_and_b32 s82, s82, 0xffffff                               // 0000000079B8: 8652FF52 00FFFFFF
	s_cmp_lt_u32 s82, s66                                      // 0000000079C0: BF0A4252
	s_cselect_b32 s20, s36, s60                                // 0000000079C4: 85143C24
	v_readlane_b32 s82, v3, 15                                 // 0000000079C8: D2890052 00011F03
	s_and_b32 s82, s82, 0xffffff                               // 0000000079D0: 8652FF52 00FFFFFF
	s_cmp_lt_u32 s82, s66                                      // 0000000079D8: BF0A4252
	s_cselect_b32 s21, s36, s60                                // 0000000079DC: 85153C24
	s_mov_b64 exec, s[20:21]                                   // 0000000079E0: BEFE0114
	global_atomic_add_f32 v6, v119, s[8:9] offset:8            // 0000000079E4: DD348008 00087706
	s_mov_b64 exec, s[36:37]                                   // 0000000079EC: BEFE0124
	v_mov_b32_e32 v6, v66                                      // 0000000079F0: 7E0C0342
	s_mov_b64 s[60:61], 0                                      // 0000000079F4: BEBC0180
	v_readlane_b32 s82, v3, 16                                 // 0000000079F8: D2890052 00012103
	s_and_b32 s82, s82, 0xffffff                               // 000000007A00: 8652FF52 00FFFFFF
	s_cmp_lt_u32 s82, s66                                      // 000000007A08: BF0A4252
	s_cselect_b32 s20, s36, s60                                // 000000007A0C: 85143C24
	v_readlane_b32 s82, v3, 17                                 // 000000007A10: D2890052 00012303
	s_and_b32 s82, s82, 0xffffff                               // 000000007A18: 8652FF52 00FFFFFF
	s_cmp_lt_u32 s82, s66                                      // 000000007A20: BF0A4252
	s_cselect_b32 s21, s36, s60                                // 000000007A24: 85153C24
	s_mov_b64 exec, s[20:21]                                   // 000000007A28: BEFE0114
	global_atomic_add_f32 v6, v122, s[8:9] offset:8            // 000000007A2C: DD348008 00087A06
	s_mov_b64 exec, s[36:37]                                   // 000000007A34: BEFE0124
	v_mov_b32_e32 v6, v67                                      // 000000007A38: 7E0C0343
	s_mov_b64 s[60:61], 0                                      // 000000007A3C: BEBC0180
	v_readlane_b32 s82, v3, 18                                 // 000000007A40: D2890052 00012503
	s_and_b32 s82, s82, 0xffffff                               // 000000007A48: 8652FF52 00FFFFFF
	s_cmp_lt_u32 s82, s66                                      // 000000007A50: BF0A4252
	s_cselect_b32 s20, s36, s60                                // 000000007A54: 85143C24
	v_readlane_b32 s82, v3, 19                                 // 000000007A58: D2890052 00012703
	s_and_b32 s82, s82, 0xffffff                               // 000000007A60: 8652FF52 00FFFFFF
	s_cmp_lt_u32 s82, s66                                      // 000000007A68: BF0A4252
	s_cselect_b32 s21, s36, s60                                // 000000007A6C: 85153C24
	s_mov_b64 exec, s[20:21]                                   // 000000007A70: BEFE0114
	global_atomic_add_f32 v6, v123, s[8:9] offset:8            // 000000007A74: DD348008 00087B06
	s_mov_b64 exec, s[36:37]                                   // 000000007A7C: BEFE0124
	v_mov_b32_e32 v6, v68                                      // 000000007A80: 7E0C0344
	s_mov_b64 s[60:61], 0                                      // 000000007A84: BEBC0180
	v_readlane_b32 s82, v3, 20                                 // 000000007A88: D2890052 00012903
	s_and_b32 s82, s82, 0xffffff                               // 000000007A90: 8652FF52 00FFFFFF
	s_cmp_lt_u32 s82, s66                                      // 000000007A98: BF0A4252
	s_cselect_b32 s20, s36, s60                                // 000000007A9C: 85143C24
	v_readlane_b32 s82, v3, 21                                 // 000000007AA0: D2890052 00012B03
	s_and_b32 s82, s82, 0xffffff                               // 000000007AA8: 8652FF52 00FFFFFF
	s_cmp_lt_u32 s82, s66                                      // 000000007AB0: BF0A4252
	s_cselect_b32 s21, s36, s60                                // 000000007AB4: 85153C24
	s_mov_b64 exec, s[20:21]                                   // 000000007AB8: BEFE0114
	global_atomic_add_f32 v6, v126, s[8:9] offset:8            // 000000007ABC: DD348008 00087E06
	s_mov_b64 exec, s[36:37]                                   // 000000007AC4: BEFE0124
	v_mov_b32_e32 v6, v69                                      // 000000007AC8: 7E0C0345
	s_mov_b64 s[60:61], 0                                      // 000000007ACC: BEBC0180
	v_readlane_b32 s82, v3, 22                                 // 000000007AD0: D2890052 00012D03
	s_and_b32 s82, s82, 0xffffff                               // 000000007AD8: 8652FF52 00FFFFFF
	s_cmp_lt_u32 s82, s66                                      // 000000007AE0: BF0A4252
	s_cselect_b32 s20, s36, s60                                // 000000007AE4: 85143C24
	v_readlane_b32 s82, v3, 23                                 // 000000007AE8: D2890052 00012F03
	s_and_b32 s82, s82, 0xffffff                               // 000000007AF0: 8652FF52 00FFFFFF
	s_cmp_lt_u32 s82, s66                                      // 000000007AF8: BF0A4252
	s_cselect_b32 s21, s36, s60                                // 000000007AFC: 85153C24
	s_mov_b64 exec, s[20:21]                                   // 000000007B00: BEFE0114
	global_atomic_add_f32 v6, v127, s[8:9] offset:8            // 000000007B04: DD348008 00087F06
	s_mov_b64 exec, s[36:37]                                   // 000000007B0C: BEFE0124
	v_mov_b32_e32 v6, v70                                      // 000000007B10: 7E0C0346
	s_mov_b64 s[60:61], 0                                      // 000000007B14: BEBC0180
	v_readlane_b32 s82, v3, 24                                 // 000000007B18: D2890052 00013103
	s_and_b32 s82, s82, 0xffffff                               // 000000007B20: 8652FF52 00FFFFFF
	s_cmp_lt_u32 s82, s66                                      // 000000007B28: BF0A4252
	s_cselect_b32 s20, s36, s60                                // 000000007B2C: 85143C24
	v_readlane_b32 s82, v3, 25                                 // 000000007B30: D2890052 00013303
	s_and_b32 s82, s82, 0xffffff                               // 000000007B38: 8652FF52 00FFFFFF
	s_cmp_lt_u32 s82, s66                                      // 000000007B40: BF0A4252
	s_cselect_b32 s21, s36, s60                                // 000000007B44: 85153C24
	s_mov_b64 exec, s[20:21]                                   // 000000007B48: BEFE0114
	global_atomic_add_f32 v6, v130, s[8:9] offset:8            // 000000007B4C: DD348008 00088206
	s_mov_b64 exec, s[36:37]                                   // 000000007B54: BEFE0124
	v_mov_b32_e32 v6, v71                                      // 000000007B58: 7E0C0347
	s_mov_b64 s[60:61], 0                                      // 000000007B5C: BEBC0180
	v_readlane_b32 s82, v3, 26                                 // 000000007B60: D2890052 00013503
	s_and_b32 s82, s82, 0xffffff                               // 000000007B68: 8652FF52 00FFFFFF
	s_cmp_lt_u32 s82, s66                                      // 000000007B70: BF0A4252
	s_cselect_b32 s20, s36, s60                                // 000000007B74: 85143C24
	v_readlane_b32 s82, v3, 27                                 // 000000007B78: D2890052 00013703
	s_and_b32 s82, s82, 0xffffff                               // 000000007B80: 8652FF52 00FFFFFF
	s_cmp_lt_u32 s82, s66                                      // 000000007B88: BF0A4252
	s_cselect_b32 s21, s36, s60                                // 000000007B8C: 85153C24
	s_mov_b64 exec, s[20:21]                                   // 000000007B90: BEFE0114
	global_atomic_add_f32 v6, v131, s[8:9] offset:8            // 000000007B94: DD348008 00088306
	s_mov_b64 exec, s[36:37]                                   // 000000007B9C: BEFE0124
	s_branch label_25AB                                        // 000000007BA0: BF82113F

0000000000007ba4 <label_146C>:
	s_waitcnt vmcnt(16) lgkmcnt(0)                             // 000000007BA4: BF8C4070
	v_mfma_f32_16x16x32_fp8_fp8 v[76:79], a[112:113], a[0:1], v[76:79]// 000000007BA8: D3F3004C 1D320170
	buffer_load_dwordx4 a[128:131], v72, s[24:27], 0 offen     // 000000007BB0: E05C1000 80868048
	v_mfma_f32_16x16x32_fp8_fp8 v[76:79], a[114:115], a[2:3], v[76:79]// 000000007BB8: D3F3004C 1D320572
	v_mfma_f32_16x16x32_fp8_fp8 v[76:79], a[116:117], a[4:5], v[76:79]// 000000007BC0: D3F3004C 1D320974
	v_mfma_f32_16x16x32_fp8_fp8 v[76:79], a[118:119], a[6:7], v[76:79]// 000000007BC8: D3F3004C 1D320D76
	v_mfma_f32_16x16x32_fp8_fp8 v[80:83], a[112:113], a[8:9], v[80:83]// 000000007BD0: D3F30050 1D421170
	buffer_load_dwordx4 a[132:135], v72, s[24:27], 0 offen offset:1024// 000000007BD8: E05C1400 80868448
	buffer_load_dword v58, s[20:23], 0 offen lds               // 000000007BE0: E0511000 8005003A
	s_add_u32 m0, 0x100, s50                                   // 000000007BE8: 807C32FF 00000100
	v_mfma_f32_16x16x32_fp8_fp8 v[80:83], a[114:115], a[10:11], v[80:83]// 000000007BF0: D3F30050 1D421572
	v_mfma_f32_16x16x32_fp8_fp8 v[80:83], a[116:117], a[12:13], v[80:83]// 000000007BF8: D3F30050 1D421974
	buffer_load_dword v59, s[20:23], 0 offen lds               // 000000007C00: E0511000 8005003B
	s_add_u32 m0, 0x200, s50                                   // 000000007C08: 807C32FF 00000200
	v_mfma_f32_16x16x32_fp8_fp8 v[80:83], a[118:119], a[14:15], v[80:83]// 000000007C10: D3F30050 1D421D76
	v_mfma_f32_16x16x32_fp8_fp8 v[84:87], a[112:113], a[16:17], v[84:87]// 000000007C18: D3F30054 1D522170
	buffer_load_dword v60, s[20:23], 0 offen lds               // 000000007C20: E0511000 8005003C
	s_add_u32 m0, 0x300, s50                                   // 000000007C28: 807C32FF 00000300
	v_mfma_f32_16x16x32_fp8_fp8 v[84:87], a[114:115], a[18:19], v[84:87]// 000000007C30: D3F30054 1D522572
	v_mfma_f32_16x16x32_fp8_fp8 v[84:87], a[116:117], a[20:21], v[84:87]// 000000007C38: D3F30054 1D522974
	buffer_load_dword v61, s[20:23], 0 offen lds               // 000000007C40: E0511000 8005003D
	s_add_u32 m0, 0x400, s50                                   // 000000007C48: 807C32FF 00000400
	v_mfma_f32_16x16x32_fp8_fp8 v[84:87], a[118:119], a[22:23], v[84:87]// 000000007C50: D3F30054 1D522D76
	v_mfma_f32_16x16x32_fp8_fp8 v[88:91], a[112:113], a[24:25], v[88:91]// 000000007C58: D3F30058 1D623170
	buffer_load_dword v62, s[20:23], 0 offen lds               // 000000007C60: E0511000 8005003E
	s_add_u32 m0, 0x500, s50                                   // 000000007C68: 807C32FF 00000500
	v_mfma_f32_16x16x32_fp8_fp8 v[88:91], a[114:115], a[26:27], v[88:91]// 000000007C70: D3F30058 1D623572
	v_mfma_f32_16x16x32_fp8_fp8 v[88:91], a[116:117], a[28:29], v[88:91]// 000000007C78: D3F30058 1D623974
	buffer_load_dword v63, s[20:23], 0 offen lds               // 000000007C80: E0511000 8005003F
	s_add_u32 m0, 0x600, s50                                   // 000000007C88: 807C32FF 00000600
	v_mfma_f32_16x16x32_fp8_fp8 v[88:91], a[118:119], a[30:31], v[88:91]// 000000007C90: D3F30058 1D623D76
	v_mfma_f32_16x16x32_fp8_fp8 v[92:95], a[112:113], a[32:33], v[92:95]// 000000007C98: D3F3005C 1D724170
	buffer_load_dword v64, s[20:23], 0 offen lds               // 000000007CA0: E0511000 80050040
	s_add_u32 m0, 0x700, s50                                   // 000000007CA8: 807C32FF 00000700
	v_mfma_f32_16x16x32_fp8_fp8 v[92:95], a[114:115], a[34:35], v[92:95]// 000000007CB0: D3F3005C 1D724572
	v_mfma_f32_16x16x32_fp8_fp8 v[92:95], a[116:117], a[36:37], v[92:95]// 000000007CB8: D3F3005C 1D724974
	buffer_load_dword v65, s[20:23], 0 offen lds               // 000000007CC0: E0511000 80050041
	s_add_u32 m0, 0x800, s50                                   // 000000007CC8: 807C32FF 00000800
	v_mfma_f32_16x16x32_fp8_fp8 v[92:95], a[118:119], a[38:39], v[92:95]// 000000007CD0: D3F3005C 1D724D76
	v_mfma_f32_16x16x32_fp8_fp8 v[96:99], a[112:113], a[40:41], v[96:99]// 000000007CD8: D3F30060 1D825170
	buffer_load_dword v66, s[20:23], 0 offen lds               // 000000007CE0: E0511000 80050042
	s_add_u32 m0, 0x900, s50                                   // 000000007CE8: 807C32FF 00000900
	v_mfma_f32_16x16x32_fp8_fp8 v[96:99], a[114:115], a[42:43], v[96:99]// 000000007CF0: D3F30060 1D825572
	v_mfma_f32_16x16x32_fp8_fp8 v[96:99], a[116:117], a[44:45], v[96:99]// 000000007CF8: D3F30060 1D825974
	buffer_load_dword v67, s[20:23], 0 offen lds               // 000000007D00: E0511000 80050043
	s_add_u32 m0, 0xa00, s50                                   // 000000007D08: 807C32FF 00000A00
	v_mfma_f32_16x16x32_fp8_fp8 v[96:99], a[118:119], a[46:47], v[96:99]// 000000007D10: D3F30060 1D825D76
	v_mfma_f32_16x16x32_fp8_fp8 v[100:103], a[112:113], a[48:49], v[100:103]// 000000007D18: D3F30064 1D926170
	buffer_load_dword v68, s[20:23], 0 offen lds               // 000000007D20: E0511000 80050044
	s_add_u32 m0, 0xb00, s50                                   // 000000007D28: 807C32FF 00000B00
	v_mfma_f32_16x16x32_fp8_fp8 v[100:103], a[114:115], a[50:51], v[100:103]// 000000007D30: D3F30064 1D926572
	v_mfma_f32_16x16x32_fp8_fp8 v[100:103], a[116:117], a[52:53], v[100:103]// 000000007D38: D3F30064 1D926974
	buffer_load_dword v69, s[20:23], 0 offen lds               // 000000007D40: E0511000 80050045
	s_add_u32 m0, 0xc00, s50                                   // 000000007D48: 807C32FF 00000C00
	v_mfma_f32_16x16x32_fp8_fp8 v[100:103], a[118:119], a[54:55], v[100:103]// 000000007D50: D3F30064 1D926D76
	buffer_load_dword v70, s[20:23], 0 offen lds               // 000000007D58: E0511000 80050046
	s_add_u32 m0, 0xd00, s50                                   // 000000007D60: 807C32FF 00000D00
	buffer_load_dword v71, s[20:23], 0 offen lds               // 000000007D68: E0511000 80050047
	s_add_u32 m0, 0, s48                                       // 000000007D70: 807C3080
	s_waitcnt vmcnt(16)                                        // 000000007D74: BF8C4F70
	s_barrier                                                  // 000000007D78: BF8A0000
	v_mfma_f32_16x16x32_fp8_fp8 v[104:107], a[120:121], a[0:1], v[104:107]// 000000007D7C: D3F30068 1DA20178
	buffer_load_dwordx4 a[112:115], v72, s[84:87], 0 offen     // 000000007D84: E05C1000 80957048
	v_mfma_f32_16x16x32_fp8_fp8 v[104:107], a[122:123], a[2:3], v[104:107]// 000000007D8C: D3F30068 1DA2057A
	v_mfma_f32_16x16x32_fp8_fp8 v[104:107], a[124:125], a[4:5], v[104:107]// 000000007D94: D3F30068 1DA2097C
	ds_read_b128 a[56:59], v2 offset:14464                     // 000000007D9C: DBFE3880 38000002
	ds_read_b128 a[60:63], v2 offset:14528                     // 000000007DA4: DBFE38C0 3C000002
	v_mfma_f32_16x16x32_fp8_fp8 v[104:107], a[126:127], a[6:7], v[104:107]// 000000007DAC: D3F30068 1DA20D7E
	v_mfma_f32_16x16x32_fp8_fp8 v[108:111], a[120:121], a[8:9], v[108:111]// 000000007DB4: D3F3006C 1DB21178
	buffer_load_dwordx4 a[116:119], v72, s[84:87], 0 offen offset:1024// 000000007DBC: E05C1400 80957448
	v_mfma_f32_16x16x32_fp8_fp8 v[108:111], a[122:123], a[10:11], v[108:111]// 000000007DC4: D3F3006C 1DB2157A
	v_mfma_f32_16x16x32_fp8_fp8 v[108:111], a[124:125], a[12:13], v[108:111]// 000000007DCC: D3F3006C 1DB2197C
	ds_read_b128 a[64:67], v2 offset:14976                     // 000000007DD4: DBFE3A80 40000002
	ds_read_b128 a[68:71], v2 offset:15040                     // 000000007DDC: DBFE3AC0 44000002
	v_mfma_f32_16x16x32_fp8_fp8 v[108:111], a[126:127], a[14:15], v[108:111]// 000000007DE4: D3F3006C 1DB21D7E
	v_mfma_f32_16x16x32_fp8_fp8 v[112:115], a[120:121], a[16:17], v[112:115]// 000000007DEC: D3F30070 1DC22178
	v_mfma_f32_16x16x32_fp8_fp8 v[112:115], a[122:123], a[18:19], v[112:115]// 000000007DF4: D3F30070 1DC2257A
	v_mfma_f32_16x16x32_fp8_fp8 v[112:115], a[124:125], a[20:21], v[112:115]// 000000007DFC: D3F30070 1DC2297C
	ds_read_b128 a[72:75], v2 offset:15488                     // 000000007E04: DBFE3C80 48000002
	ds_read_b128 a[76:79], v2 offset:15552                     // 000000007E0C: DBFE3CC0 4C000002
	v_mfma_f32_16x16x32_fp8_fp8 v[112:115], a[126:127], a[22:23], v[112:115]// 000000007E14: D3F30070 1DC22D7E
	v_mfma_f32_16x16x32_fp8_fp8 v[116:119], a[120:121], a[24:25], v[116:119]// 000000007E1C: D3F30074 1DD23178
	v_mfma_f32_16x16x32_fp8_fp8 v[116:119], a[122:123], a[26:27], v[116:119]// 000000007E24: D3F30074 1DD2357A
	v_mfma_f32_16x16x32_fp8_fp8 v[116:119], a[124:125], a[28:29], v[116:119]// 000000007E2C: D3F30074 1DD2397C
	ds_read_b128 a[80:83], v2 offset:16000                     // 000000007E34: DBFE3E80 50000002
	ds_read_b128 a[84:87], v2 offset:16064                     // 000000007E3C: DBFE3EC0 54000002
	v_mfma_f32_16x16x32_fp8_fp8 v[116:119], a[126:127], a[30:31], v[116:119]// 000000007E44: D3F30074 1DD23D7E
	v_mfma_f32_16x16x32_fp8_fp8 v[120:123], a[120:121], a[32:33], v[120:123]// 000000007E4C: D3F30078 1DE24178
	v_mfma_f32_16x16x32_fp8_fp8 v[120:123], a[122:123], a[34:35], v[120:123]// 000000007E54: D3F30078 1DE2457A
	v_mfma_f32_16x16x32_fp8_fp8 v[120:123], a[124:125], a[36:37], v[120:123]// 000000007E5C: D3F30078 1DE2497C
	ds_read_b128 a[88:91], v2 offset:16512                     // 000000007E64: DBFE4080 58000002
	ds_read_b128 a[92:95], v2 offset:16576                     // 000000007E6C: DBFE40C0 5C000002
	v_mfma_f32_16x16x32_fp8_fp8 v[120:123], a[126:127], a[38:39], v[120:123]// 000000007E74: D3F30078 1DE24D7E
	v_mfma_f32_16x16x32_fp8_fp8 v[124:127], a[120:121], a[40:41], v[124:127]// 000000007E7C: D3F3007C 1DF25178
	s_add_u32 s60, 0x180, s80                                  // 000000007E84: 803C50FF 00000180
	s_cmp_lt_u32 s60, s81                                      // 000000007E8C: BF0A513C
	s_cselect_b32 s57, s57, 0                                  // 000000007E90: 85398039
	v_mfma_f32_16x16x32_fp8_fp8 v[124:127], a[122:123], a[42:43], v[124:127]// 000000007E94: D3F3007C 1DF2557A
	s_add_u32 s60, 0x100, s80                                  // 000000007E9C: 803C50FF 00000100
	s_cmp_lt_u32 s60, s81                                      // 000000007EA4: BF0A513C
	s_cselect_b32 s58, s58, 0                                  // 000000007EA8: 853A803A
	v_mfma_f32_16x16x32_fp8_fp8 v[124:127], a[124:125], a[44:45], v[124:127]// 000000007EAC: D3F3007C 1DF2597C
	ds_read_b128 a[96:99], v2 offset:17024                     // 000000007EB4: DBFE4280 60000002
	ds_read_b128 a[100:103], v2 offset:17088                   // 000000007EBC: DBFE42C0 64000002
	s_add_u32 s60, 0x100, s80                                  // 000000007EC4: 803C50FF 00000100
	s_cmp_lt_u32 s60, s81                                      // 000000007ECC: BF0A513C
	s_cselect_b32 s83, s83, 0                                  // 000000007ED0: 85538053
	v_mfma_f32_16x16x32_fp8_fp8 v[124:127], a[126:127], a[46:47], v[124:127]// 000000007ED4: D3F3007C 1DF25D7E
	s_add_u32 s24, s58, s24                                    // 000000007EDC: 8018183A
	s_addc_u32 s25, 0, s25                                     // 000000007EE0: 82191980
	v_mfma_f32_16x16x32_fp8_fp8 v[128:131], a[120:121], a[48:49], v[128:131]// 000000007EE4: D3F30080 1E026178
	s_add_u32 s20, s57, s20                                    // 000000007EEC: 80141439
	s_addc_u32 s21, 0, s21                                     // 000000007EF0: 82151580
	v_mfma_f32_16x16x32_fp8_fp8 v[128:131], a[122:123], a[50:51], v[128:131]// 000000007EF4: D3F30080 1E02657A
	s_add_u32 s84, s83, s84                                    // 000000007EFC: 80545453
	s_addc_u32 s85, 0, s85                                     // 000000007F00: 82555580
	v_mfma_f32_16x16x32_fp8_fp8 v[128:131], a[124:125], a[52:53], v[128:131]// 000000007F04: D3F30080 1E02697C
	ds_read_b128 a[104:107], v2 offset:17536                   // 000000007F0C: DBFE4480 68000002
	ds_read_b128 a[108:111], v2 offset:17600                   // 000000007F14: DBFE44C0 6C000002
	v_mfma_f32_16x16x32_fp8_fp8 v[128:131], a[126:127], a[54:55], v[128:131]// 000000007F1C: D3F30080 1E026D7E
	s_addk_i32 s80, 0x80                                       // 000000007F24: B7500080
	s_cmp_lt_i32 s80, s81                                      // 000000007F28: BF045150
	s_cbranch_scc0 label_19BF                                  // 000000007F2C: BF840470
	s_waitcnt vmcnt(16) lgkmcnt(0)                             // 000000007F30: BF8C4070
	v_mfma_f32_16x16x32_fp8_fp8 v[76:79], a[128:129], a[56:57], v[76:79]// 000000007F34: D3F3004C 1D327180
	buffer_load_dwordx4 a[120:123], v72, s[24:27], 0 offen     // 000000007F3C: E05C1000 80867848
	v_mfma_f32_16x16x32_fp8_fp8 v[76:79], a[130:131], a[58:59], v[76:79]// 000000007F44: D3F3004C 1D327582
	v_mfma_f32_16x16x32_fp8_fp8 v[76:79], a[132:133], a[60:61], v[76:79]// 000000007F4C: D3F3004C 1D327984
	v_mfma_f32_16x16x32_fp8_fp8 v[76:79], a[134:135], a[62:63], v[76:79]// 000000007F54: D3F3004C 1D327D86
	v_mfma_f32_16x16x32_fp8_fp8 v[80:83], a[128:129], a[64:65], v[80:83]// 000000007F5C: D3F30050 1D428180
	buffer_load_dwordx4 a[124:127], v72, s[24:27], 0 offen offset:1024// 000000007F64: E05C1400 80867C48
	buffer_load_dword v58, s[20:23], 0 offen lds               // 000000007F6C: E0511000 8005003A
	s_add_u32 m0, 0x100, s48                                   // 000000007F74: 807C30FF 00000100
	v_mfma_f32_16x16x32_fp8_fp8 v[80:83], a[130:131], a[66:67], v[80:83]// 000000007F7C: D3F30050 1D428582
	v_mfma_f32_16x16x32_fp8_fp8 v[80:83], a[132:133], a[68:69], v[80:83]// 000000007F84: D3F30050 1D428984
	buffer_load_dword v59, s[20:23], 0 offen lds               // 000000007F8C: E0511000 8005003B
	s_add_u32 m0, 0x200, s48                                   // 000000007F94: 807C30FF 00000200
	v_mfma_f32_16x16x32_fp8_fp8 v[80:83], a[134:135], a[70:71], v[80:83]// 000000007F9C: D3F30050 1D428D86
	v_mfma_f32_16x16x32_fp8_fp8 v[84:87], a[128:129], a[72:73], v[84:87]// 000000007FA4: D3F30054 1D529180
	buffer_load_dword v60, s[20:23], 0 offen lds               // 000000007FAC: E0511000 8005003C
	s_add_u32 m0, 0x300, s48                                   // 000000007FB4: 807C30FF 00000300
	v_mfma_f32_16x16x32_fp8_fp8 v[84:87], a[130:131], a[74:75], v[84:87]// 000000007FBC: D3F30054 1D529582
	v_mfma_f32_16x16x32_fp8_fp8 v[84:87], a[132:133], a[76:77], v[84:87]// 000000007FC4: D3F30054 1D529984
	buffer_load_dword v61, s[20:23], 0 offen lds               // 000000007FCC: E0511000 8005003D
	s_add_u32 m0, 0x400, s48                                   // 000000007FD4: 807C30FF 00000400
	v_mfma_f32_16x16x32_fp8_fp8 v[84:87], a[134:135], a[78:79], v[84:87]// 000000007FDC: D3F30054 1D529D86
	v_mfma_f32_16x16x32_fp8_fp8 v[88:91], a[128:129], a[80:81], v[88:91]// 000000007FE4: D3F30058 1D62A180
	buffer_load_dword v62, s[20:23], 0 offen lds               // 000000007FEC: E0511000 8005003E
	s_add_u32 m0, 0x500, s48                                   // 000000007FF4: 807C30FF 00000500
	v_mfma_f32_16x16x32_fp8_fp8 v[88:91], a[130:131], a[82:83], v[88:91]// 000000007FFC: D3F30058 1D62A582
	v_mfma_f32_16x16x32_fp8_fp8 v[88:91], a[132:133], a[84:85], v[88:91]// 000000008004: D3F30058 1D62A984
	buffer_load_dword v63, s[20:23], 0 offen lds               // 00000000800C: E0511000 8005003F
	s_add_u32 m0, 0x600, s48                                   // 000000008014: 807C30FF 00000600
	v_mfma_f32_16x16x32_fp8_fp8 v[88:91], a[134:135], a[86:87], v[88:91]// 00000000801C: D3F30058 1D62AD86
	v_mfma_f32_16x16x32_fp8_fp8 v[92:95], a[128:129], a[88:89], v[92:95]// 000000008024: D3F3005C 1D72B180
	buffer_load_dword v64, s[20:23], 0 offen lds               // 00000000802C: E0511000 80050040
	s_add_u32 m0, 0x700, s48                                   // 000000008034: 807C30FF 00000700
	v_mfma_f32_16x16x32_fp8_fp8 v[92:95], a[130:131], a[90:91], v[92:95]// 00000000803C: D3F3005C 1D72B582
	v_mfma_f32_16x16x32_fp8_fp8 v[92:95], a[132:133], a[92:93], v[92:95]// 000000008044: D3F3005C 1D72B984
	buffer_load_dword v65, s[20:23], 0 offen lds               // 00000000804C: E0511000 80050041
	s_add_u32 m0, 0x800, s48                                   // 000000008054: 807C30FF 00000800
	v_mfma_f32_16x16x32_fp8_fp8 v[92:95], a[134:135], a[94:95], v[92:95]// 00000000805C: D3F3005C 1D72BD86
	v_mfma_f32_16x16x32_fp8_fp8 v[96:99], a[128:129], a[96:97], v[96:99]// 000000008064: D3F30060 1D82C180
	buffer_load_dword v66, s[20:23], 0 offen lds               // 00000000806C: E0511000 80050042
	s_add_u32 m0, 0x900, s48                                   // 000000008074: 807C30FF 00000900
	v_mfma_f32_16x16x32_fp8_fp8 v[96:99], a[130:131], a[98:99], v[96:99]// 00000000807C: D3F30060 1D82C582
	v_mfma_f32_16x16x32_fp8_fp8 v[96:99], a[132:133], a[100:101], v[96:99]// 000000008084: D3F30060 1D82C984
	buffer_load_dword v67, s[20:23], 0 offen lds               // 00000000808C: E0511000 80050043
	s_add_u32 m0, 0xa00, s48                                   // 000000008094: 807C30FF 00000A00
	v_mfma_f32_16x16x32_fp8_fp8 v[96:99], a[134:135], a[102:103], v[96:99]// 00000000809C: D3F30060 1D82CD86
	v_mfma_f32_16x16x32_fp8_fp8 v[100:103], a[128:129], a[104:105], v[100:103]// 0000000080A4: D3F30064 1D92D180
	buffer_load_dword v68, s[20:23], 0 offen lds               // 0000000080AC: E0511000 80050044
	s_add_u32 m0, 0xb00, s48                                   // 0000000080B4: 807C30FF 00000B00
	v_mfma_f32_16x16x32_fp8_fp8 v[100:103], a[130:131], a[106:107], v[100:103]// 0000000080BC: D3F30064 1D92D582
	v_mfma_f32_16x16x32_fp8_fp8 v[100:103], a[132:133], a[108:109], v[100:103]// 0000000080C4: D3F30064 1D92D984
	buffer_load_dword v69, s[20:23], 0 offen lds               // 0000000080CC: E0511000 80050045
	s_add_u32 m0, 0xc00, s48                                   // 0000000080D4: 807C30FF 00000C00
	v_mfma_f32_16x16x32_fp8_fp8 v[100:103], a[134:135], a[110:111], v[100:103]// 0000000080DC: D3F30064 1D92DD86
	buffer_load_dword v70, s[20:23], 0 offen lds               // 0000000080E4: E0511000 80050046
	s_add_u32 m0, 0xd00, s48                                   // 0000000080EC: 807C30FF 00000D00
	buffer_load_dword v71, s[20:23], 0 offen lds               // 0000000080F4: E0511000 80050047
	s_add_u32 m0, 0, s49                                       // 0000000080FC: 807C3180
	s_waitcnt vmcnt(16)                                        // 000000008100: BF8C4F70
	s_barrier                                                  // 000000008104: BF8A0000
	v_mfma_f32_16x16x32_fp8_fp8 v[104:107], a[112:113], a[56:57], v[104:107]// 000000008108: D3F30068 1DA27170
	buffer_load_dwordx4 a[128:131], v72, s[84:87], 0 offen     // 000000008110: E05C1000 80958048
	v_mfma_f32_16x16x32_fp8_fp8 v[104:107], a[114:115], a[58:59], v[104:107]// 000000008118: D3F30068 1DA27572
	v_mfma_f32_16x16x32_fp8_fp8 v[104:107], a[116:117], a[60:61], v[104:107]// 000000008120: D3F30068 1DA27974
	ds_read_b128 a[0:3], v2 offset:28928                       // 000000008128: DBFE7100 00000002
	ds_read_b128 a[4:7], v2 offset:28992                       // 000000008130: DBFE7140 04000002
	v_mfma_f32_16x16x32_fp8_fp8 v[104:107], a[118:119], a[62:63], v[104:107]// 000000008138: D3F30068 1DA27D76
	v_mfma_f32_16x16x32_fp8_fp8 v[108:111], a[112:113], a[64:65], v[108:111]// 000000008140: D3F3006C 1DB28170
	buffer_load_dwordx4 a[132:135], v72, s[84:87], 0 offen offset:1024// 000000008148: E05C1400 80958448
	v_mfma_f32_16x16x32_fp8_fp8 v[108:111], a[114:115], a[66:67], v[108:111]// 000000008150: D3F3006C 1DB28572
	v_mfma_f32_16x16x32_fp8_fp8 v[108:111], a[116:117], a[68:69], v[108:111]// 000000008158: D3F3006C 1DB28974
	ds_read_b128 a[8:11], v2 offset:29440                      // 000000008160: DBFE7300 08000002
	ds_read_b128 a[12:15], v2 offset:29504                     // 000000008168: DBFE7340 0C000002
	v_mfma_f32_16x16x32_fp8_fp8 v[108:111], a[118:119], a[70:71], v[108:111]// 000000008170: D3F3006C 1DB28D76
	v_mfma_f32_16x16x32_fp8_fp8 v[112:115], a[112:113], a[72:73], v[112:115]// 000000008178: D3F30070 1DC29170
	v_mfma_f32_16x16x32_fp8_fp8 v[112:115], a[114:115], a[74:75], v[112:115]// 000000008180: D3F30070 1DC29572
	v_mfma_f32_16x16x32_fp8_fp8 v[112:115], a[116:117], a[76:77], v[112:115]// 000000008188: D3F30070 1DC29974
	ds_read_b128 a[16:19], v2 offset:29952                     // 000000008190: DBFE7500 10000002
	ds_read_b128 a[20:23], v2 offset:30016                     // 000000008198: DBFE7540 14000002
	v_mfma_f32_16x16x32_fp8_fp8 v[112:115], a[118:119], a[78:79], v[112:115]// 0000000081A0: D3F30070 1DC29D76
	v_mfma_f32_16x16x32_fp8_fp8 v[116:119], a[112:113], a[80:81], v[116:119]// 0000000081A8: D3F30074 1DD2A170
	v_mfma_f32_16x16x32_fp8_fp8 v[116:119], a[114:115], a[82:83], v[116:119]// 0000000081B0: D3F30074 1DD2A572
	v_mfma_f32_16x16x32_fp8_fp8 v[116:119], a[116:117], a[84:85], v[116:119]// 0000000081B8: D3F30074 1DD2A974
	ds_read_b128 a[24:27], v2 offset:30464                     // 0000000081C0: DBFE7700 18000002
	ds_read_b128 a[28:31], v2 offset:30528                     // 0000000081C8: DBFE7740 1C000002
	v_mfma_f32_16x16x32_fp8_fp8 v[116:119], a[118:119], a[86:87], v[116:119]// 0000000081D0: D3F30074 1DD2AD76
	v_mfma_f32_16x16x32_fp8_fp8 v[120:123], a[112:113], a[88:89], v[120:123]// 0000000081D8: D3F30078 1DE2B170
	v_mfma_f32_16x16x32_fp8_fp8 v[120:123], a[114:115], a[90:91], v[120:123]// 0000000081E0: D3F30078 1DE2B572
	v_mfma_f32_16x16x32_fp8_fp8 v[120:123], a[116:117], a[92:93], v[120:123]// 0000000081E8: D3F30078 1DE2B974
	ds_read_b128 a[32:35], v2 offset:30976                     // 0000000081F0: DBFE7900 20000002
	ds_read_b128 a[36:39], v2 offset:31040                     // 0000000081F8: DBFE7940 24000002
	v_mfma_f32_16x16x32_fp8_fp8 v[120:123], a[118:119], a[94:95], v[120:123]// 000000008200: D3F30078 1DE2BD76
	v_mfma_f32_16x16x32_fp8_fp8 v[124:127], a[112:113], a[96:97], v[124:127]// 000000008208: D3F3007C 1DF2C170
	s_add_u32 s60, 0x180, s80                                  // 000000008210: 803C50FF 00000180
	s_cmp_lt_u32 s60, s81                                      // 000000008218: BF0A513C
	s_cselect_b32 s57, s57, 0                                  // 00000000821C: 85398039
	v_mfma_f32_16x16x32_fp8_fp8 v[124:127], a[114:115], a[98:99], v[124:127]// 000000008220: D3F3007C 1DF2C572
	s_add_u32 s60, 0x100, s80                                  // 000000008228: 803C50FF 00000100
	s_cmp_lt_u32 s60, s81                                      // 000000008230: BF0A513C
	s_cselect_b32 s58, s58, 0                                  // 000000008234: 853A803A
	v_mfma_f32_16x16x32_fp8_fp8 v[124:127], a[116:117], a[100:101], v[124:127]// 000000008238: D3F3007C 1DF2C974
	ds_read_b128 a[40:43], v2 offset:31488                     // 000000008240: DBFE7B00 28000002
	ds_read_b128 a[44:47], v2 offset:31552                     // 000000008248: DBFE7B40 2C000002
	s_add_u32 s60, 0x100, s80                                  // 000000008250: 803C50FF 00000100
	s_cmp_lt_u32 s60, s81                                      // 000000008258: BF0A513C
	s_cselect_b32 s83, s83, 0                                  // 00000000825C: 85538053
	v_mfma_f32_16x16x32_fp8_fp8 v[124:127], a[118:119], a[102:103], v[124:127]// 000000008260: D3F3007C 1DF2CD76
	s_add_u32 s24, s58, s24                                    // 000000008268: 8018183A
	s_addc_u32 s25, 0, s25                                     // 00000000826C: 82191980
	v_mfma_f32_16x16x32_fp8_fp8 v[128:131], a[112:113], a[104:105], v[128:131]// 000000008270: D3F30080 1E02D170
	s_add_u32 s20, s57, s20                                    // 000000008278: 80141439
	s_addc_u32 s21, 0, s21                                     // 00000000827C: 82151580
	v_mfma_f32_16x16x32_fp8_fp8 v[128:131], a[114:115], a[106:107], v[128:131]// 000000008280: D3F30080 1E02D572
	s_add_u32 s84, s83, s84                                    // 000000008288: 80545453
	s_addc_u32 s85, 0, s85                                     // 00000000828C: 82555580
	v_mfma_f32_16x16x32_fp8_fp8 v[128:131], a[116:117], a[108:109], v[128:131]// 000000008290: D3F30080 1E02D974
	ds_read_b128 a[48:51], v2 offset:32000                     // 000000008298: DBFE7D00 30000002
	ds_read_b128 a[52:55], v2 offset:32064                     // 0000000082A0: DBFE7D40 34000002
	v_mfma_f32_16x16x32_fp8_fp8 v[128:131], a[118:119], a[110:111], v[128:131]// 0000000082A8: D3F30080 1E02DD76
	s_addk_i32 s80, 0x80                                       // 0000000082B0: B7500080
	s_cmp_lt_i32 s80, s81                                      // 0000000082B4: BF045150
	s_cbranch_scc0 label_19BF                                  // 0000000082B8: BF84038D
	s_waitcnt vmcnt(16) lgkmcnt(0)                             // 0000000082BC: BF8C4070
	v_mfma_f32_16x16x32_fp8_fp8 v[76:79], a[120:121], a[0:1], v[76:79]// 0000000082C0: D3F3004C 1D320178
	buffer_load_dwordx4 a[112:115], v72, s[24:27], 0 offen     // 0000000082C8: E05C1000 80867048
	v_mfma_f32_16x16x32_fp8_fp8 v[76:79], a[122:123], a[2:3], v[76:79]// 0000000082D0: D3F3004C 1D32057A
	v_mfma_f32_16x16x32_fp8_fp8 v[76:79], a[124:125], a[4:5], v[76:79]// 0000000082D8: D3F3004C 1D32097C
	v_mfma_f32_16x16x32_fp8_fp8 v[76:79], a[126:127], a[6:7], v[76:79]// 0000000082E0: D3F3004C 1D320D7E
	v_mfma_f32_16x16x32_fp8_fp8 v[80:83], a[120:121], a[8:9], v[80:83]// 0000000082E8: D3F30050 1D421178
	buffer_load_dwordx4 a[116:119], v72, s[24:27], 0 offen offset:1024// 0000000082F0: E05C1400 80867448
	buffer_load_dword v58, s[20:23], 0 offen lds               // 0000000082F8: E0511000 8005003A
	s_add_u32 m0, 0x100, s49                                   // 000000008300: 807C31FF 00000100
	v_mfma_f32_16x16x32_fp8_fp8 v[80:83], a[122:123], a[10:11], v[80:83]// 000000008308: D3F30050 1D42157A
	v_mfma_f32_16x16x32_fp8_fp8 v[80:83], a[124:125], a[12:13], v[80:83]// 000000008310: D3F30050 1D42197C
	buffer_load_dword v59, s[20:23], 0 offen lds               // 000000008318: E0511000 8005003B
	s_add_u32 m0, 0x200, s49                                   // 000000008320: 807C31FF 00000200
	v_mfma_f32_16x16x32_fp8_fp8 v[80:83], a[126:127], a[14:15], v[80:83]// 000000008328: D3F30050 1D421D7E
	v_mfma_f32_16x16x32_fp8_fp8 v[84:87], a[120:121], a[16:17], v[84:87]// 000000008330: D3F30054 1D522178
	buffer_load_dword v60, s[20:23], 0 offen lds               // 000000008338: E0511000 8005003C
	s_add_u32 m0, 0x300, s49                                   // 000000008340: 807C31FF 00000300
	v_mfma_f32_16x16x32_fp8_fp8 v[84:87], a[122:123], a[18:19], v[84:87]// 000000008348: D3F30054 1D52257A
	v_mfma_f32_16x16x32_fp8_fp8 v[84:87], a[124:125], a[20:21], v[84:87]// 000000008350: D3F30054 1D52297C
	buffer_load_dword v61, s[20:23], 0 offen lds               // 000000008358: E0511000 8005003D
	s_add_u32 m0, 0x400, s49                                   // 000000008360: 807C31FF 00000400
	v_mfma_f32_16x16x32_fp8_fp8 v[84:87], a[126:127], a[22:23], v[84:87]// 000000008368: D3F30054 1D522D7E
	v_mfma_f32_16x16x32_fp8_fp8 v[88:91], a[120:121], a[24:25], v[88:91]// 000000008370: D3F30058 1D623178
	buffer_load_dword v62, s[20:23], 0 offen lds               // 000000008378: E0511000 8005003E
	s_add_u32 m0, 0x500, s49                                   // 000000008380: 807C31FF 00000500
	v_mfma_f32_16x16x32_fp8_fp8 v[88:91], a[122:123], a[26:27], v[88:91]// 000000008388: D3F30058 1D62357A
	v_mfma_f32_16x16x32_fp8_fp8 v[88:91], a[124:125], a[28:29], v[88:91]// 000000008390: D3F30058 1D62397C
	buffer_load_dword v63, s[20:23], 0 offen lds               // 000000008398: E0511000 8005003F
	s_add_u32 m0, 0x600, s49                                   // 0000000083A0: 807C31FF 00000600
	v_mfma_f32_16x16x32_fp8_fp8 v[88:91], a[126:127], a[30:31], v[88:91]// 0000000083A8: D3F30058 1D623D7E
	v_mfma_f32_16x16x32_fp8_fp8 v[92:95], a[120:121], a[32:33], v[92:95]// 0000000083B0: D3F3005C 1D724178
	buffer_load_dword v64, s[20:23], 0 offen lds               // 0000000083B8: E0511000 80050040
	s_add_u32 m0, 0x700, s49                                   // 0000000083C0: 807C31FF 00000700
	v_mfma_f32_16x16x32_fp8_fp8 v[92:95], a[122:123], a[34:35], v[92:95]// 0000000083C8: D3F3005C 1D72457A
	v_mfma_f32_16x16x32_fp8_fp8 v[92:95], a[124:125], a[36:37], v[92:95]// 0000000083D0: D3F3005C 1D72497C
	buffer_load_dword v65, s[20:23], 0 offen lds               // 0000000083D8: E0511000 80050041
	s_add_u32 m0, 0x800, s49                                   // 0000000083E0: 807C31FF 00000800
	v_mfma_f32_16x16x32_fp8_fp8 v[92:95], a[126:127], a[38:39], v[92:95]// 0000000083E8: D3F3005C 1D724D7E
	v_mfma_f32_16x16x32_fp8_fp8 v[96:99], a[120:121], a[40:41], v[96:99]// 0000000083F0: D3F30060 1D825178
	buffer_load_dword v66, s[20:23], 0 offen lds               // 0000000083F8: E0511000 80050042
	s_add_u32 m0, 0x900, s49                                   // 000000008400: 807C31FF 00000900
	v_mfma_f32_16x16x32_fp8_fp8 v[96:99], a[122:123], a[42:43], v[96:99]// 000000008408: D3F30060 1D82557A
	v_mfma_f32_16x16x32_fp8_fp8 v[96:99], a[124:125], a[44:45], v[96:99]// 000000008410: D3F30060 1D82597C
	buffer_load_dword v67, s[20:23], 0 offen lds               // 000000008418: E0511000 80050043
	s_add_u32 m0, 0xa00, s49                                   // 000000008420: 807C31FF 00000A00
	v_mfma_f32_16x16x32_fp8_fp8 v[96:99], a[126:127], a[46:47], v[96:99]// 000000008428: D3F30060 1D825D7E
	v_mfma_f32_16x16x32_fp8_fp8 v[100:103], a[120:121], a[48:49], v[100:103]// 000000008430: D3F30064 1D926178
	buffer_load_dword v68, s[20:23], 0 offen lds               // 000000008438: E0511000 80050044
	s_add_u32 m0, 0xb00, s49                                   // 000000008440: 807C31FF 00000B00
	v_mfma_f32_16x16x32_fp8_fp8 v[100:103], a[122:123], a[50:51], v[100:103]// 000000008448: D3F30064 1D92657A
	v_mfma_f32_16x16x32_fp8_fp8 v[100:103], a[124:125], a[52:53], v[100:103]// 000000008450: D3F30064 1D92697C
	buffer_load_dword v69, s[20:23], 0 offen lds               // 000000008458: E0511000 80050045
	s_add_u32 m0, 0xc00, s49                                   // 000000008460: 807C31FF 00000C00
	v_mfma_f32_16x16x32_fp8_fp8 v[100:103], a[126:127], a[54:55], v[100:103]// 000000008468: D3F30064 1D926D7E
	buffer_load_dword v70, s[20:23], 0 offen lds               // 000000008470: E0511000 80050046
	s_add_u32 m0, 0xd00, s49                                   // 000000008478: 807C31FF 00000D00
	buffer_load_dword v71, s[20:23], 0 offen lds               // 000000008480: E0511000 80050047
	s_add_u32 m0, 0, s50                                       // 000000008488: 807C3280
	s_waitcnt vmcnt(16)                                        // 00000000848C: BF8C4F70
	s_barrier                                                  // 000000008490: BF8A0000
	v_mfma_f32_16x16x32_fp8_fp8 v[104:107], a[128:129], a[0:1], v[104:107]// 000000008494: D3F30068 1DA20180
	buffer_load_dwordx4 a[120:123], v72, s[84:87], 0 offen     // 00000000849C: E05C1000 80957848
	v_mfma_f32_16x16x32_fp8_fp8 v[104:107], a[130:131], a[2:3], v[104:107]// 0000000084A4: D3F30068 1DA20582
	v_mfma_f32_16x16x32_fp8_fp8 v[104:107], a[132:133], a[4:5], v[104:107]// 0000000084AC: D3F30068 1DA20984
	ds_read_b128 a[56:59], v2                                  // 0000000084B4: DBFE0000 38000002
	ds_read_b128 a[60:63], v2 offset:64                        // 0000000084BC: DBFE0040 3C000002
	v_mfma_f32_16x16x32_fp8_fp8 v[104:107], a[134:135], a[6:7], v[104:107]// 0000000084C4: D3F30068 1DA20D86
	v_mfma_f32_16x16x32_fp8_fp8 v[108:111], a[128:129], a[8:9], v[108:111]// 0000000084CC: D3F3006C 1DB21180
	buffer_load_dwordx4 a[124:127], v72, s[84:87], 0 offen offset:1024// 0000000084D4: E05C1400 80957C48
	v_mfma_f32_16x16x32_fp8_fp8 v[108:111], a[130:131], a[10:11], v[108:111]// 0000000084DC: D3F3006C 1DB21582
	v_mfma_f32_16x16x32_fp8_fp8 v[108:111], a[132:133], a[12:13], v[108:111]// 0000000084E4: D3F3006C 1DB21984
	ds_read_b128 a[64:67], v2 offset:512                       // 0000000084EC: DBFE0200 40000002
	ds_read_b128 a[68:71], v2 offset:576                       // 0000000084F4: DBFE0240 44000002
	v_mfma_f32_16x16x32_fp8_fp8 v[108:111], a[134:135], a[14:15], v[108:111]// 0000000084FC: D3F3006C 1DB21D86
	v_mfma_f32_16x16x32_fp8_fp8 v[112:115], a[128:129], a[16:17], v[112:115]// 000000008504: D3F30070 1DC22180
	v_mfma_f32_16x16x32_fp8_fp8 v[112:115], a[130:131], a[18:19], v[112:115]// 00000000850C: D3F30070 1DC22582
	v_mfma_f32_16x16x32_fp8_fp8 v[112:115], a[132:133], a[20:21], v[112:115]// 000000008514: D3F30070 1DC22984
	ds_read_b128 a[72:75], v2 offset:1024                      // 00000000851C: DBFE0400 48000002
	ds_read_b128 a[76:79], v2 offset:1088                      // 000000008524: DBFE0440 4C000002
	v_mfma_f32_16x16x32_fp8_fp8 v[112:115], a[134:135], a[22:23], v[112:115]// 00000000852C: D3F30070 1DC22D86
	v_mfma_f32_16x16x32_fp8_fp8 v[116:119], a[128:129], a[24:25], v[116:119]// 000000008534: D3F30074 1DD23180
	v_mfma_f32_16x16x32_fp8_fp8 v[116:119], a[130:131], a[26:27], v[116:119]// 00000000853C: D3F30074 1DD23582
	v_mfma_f32_16x16x32_fp8_fp8 v[116:119], a[132:133], a[28:29], v[116:119]// 000000008544: D3F30074 1DD23984
	ds_read_b128 a[80:83], v2 offset:1536                      // 00000000854C: DBFE0600 50000002
	ds_read_b128 a[84:87], v2 offset:1600                      // 000000008554: DBFE0640 54000002
	v_mfma_f32_16x16x32_fp8_fp8 v[116:119], a[134:135], a[30:31], v[116:119]// 00000000855C: D3F30074 1DD23D86
	v_mfma_f32_16x16x32_fp8_fp8 v[120:123], a[128:129], a[32:33], v[120:123]// 000000008564: D3F30078 1DE24180
	v_mfma_f32_16x16x32_fp8_fp8 v[120:123], a[130:131], a[34:35], v[120:123]// 00000000856C: D3F30078 1DE24582
	v_mfma_f32_16x16x32_fp8_fp8 v[120:123], a[132:133], a[36:37], v[120:123]// 000000008574: D3F30078 1DE24984
	ds_read_b128 a[88:91], v2 offset:2048                      // 00000000857C: DBFE0800 58000002
	ds_read_b128 a[92:95], v2 offset:2112                      // 000000008584: DBFE0840 5C000002
	v_mfma_f32_16x16x32_fp8_fp8 v[120:123], a[134:135], a[38:39], v[120:123]// 00000000858C: D3F30078 1DE24D86
	v_mfma_f32_16x16x32_fp8_fp8 v[124:127], a[128:129], a[40:41], v[124:127]// 000000008594: D3F3007C 1DF25180
	s_add_u32 s60, 0x180, s80                                  // 00000000859C: 803C50FF 00000180
	s_cmp_lt_u32 s60, s81                                      // 0000000085A4: BF0A513C
	s_cselect_b32 s57, s57, 0                                  // 0000000085A8: 85398039
	v_mfma_f32_16x16x32_fp8_fp8 v[124:127], a[130:131], a[42:43], v[124:127]// 0000000085AC: D3F3007C 1DF25582
	s_add_u32 s60, 0x100, s80                                  // 0000000085B4: 803C50FF 00000100
	s_cmp_lt_u32 s60, s81                                      // 0000000085BC: BF0A513C
	s_cselect_b32 s58, s58, 0                                  // 0000000085C0: 853A803A
	v_mfma_f32_16x16x32_fp8_fp8 v[124:127], a[132:133], a[44:45], v[124:127]// 0000000085C4: D3F3007C 1DF25984
	ds_read_b128 a[96:99], v2 offset:2560                      // 0000000085CC: DBFE0A00 60000002
	ds_read_b128 a[100:103], v2 offset:2624                    // 0000000085D4: DBFE0A40 64000002
	s_add_u32 s60, 0x100, s80                                  // 0000000085DC: 803C50FF 00000100
	s_cmp_lt_u32 s60, s81                                      // 0000000085E4: BF0A513C
	s_cselect_b32 s83, s83, 0                                  // 0000000085E8: 85538053
	v_mfma_f32_16x16x32_fp8_fp8 v[124:127], a[134:135], a[46:47], v[124:127]// 0000000085EC: D3F3007C 1DF25D86
	s_add_u32 s24, s58, s24                                    // 0000000085F4: 8018183A
	s_addc_u32 s25, 0, s25                                     // 0000000085F8: 82191980
	v_mfma_f32_16x16x32_fp8_fp8 v[128:131], a[128:129], a[48:49], v[128:131]// 0000000085FC: D3F30080 1E026180
	s_add_u32 s20, s57, s20                                    // 000000008604: 80141439
	s_addc_u32 s21, 0, s21                                     // 000000008608: 82151580
	v_mfma_f32_16x16x32_fp8_fp8 v[128:131], a[130:131], a[50:51], v[128:131]// 00000000860C: D3F30080 1E026582
	s_add_u32 s84, s83, s84                                    // 000000008614: 80545453
	s_addc_u32 s85, 0, s85                                     // 000000008618: 82555580
	v_mfma_f32_16x16x32_fp8_fp8 v[128:131], a[132:133], a[52:53], v[128:131]// 00000000861C: D3F30080 1E026984
	ds_read_b128 a[104:107], v2 offset:3072                    // 000000008624: DBFE0C00 68000002
	ds_read_b128 a[108:111], v2 offset:3136                    // 00000000862C: DBFE0C40 6C000002
	v_mfma_f32_16x16x32_fp8_fp8 v[128:131], a[134:135], a[54:55], v[128:131]// 000000008634: D3F30080 1E026D86
	s_addk_i32 s80, 0x80                                       // 00000000863C: B7500080
	s_cmp_lt_i32 s80, s81                                      // 000000008640: BF045150
	s_cbranch_scc0 label_19BF                                  // 000000008644: BF8402AA
	s_waitcnt vmcnt(16) lgkmcnt(0)                             // 000000008648: BF8C4070
	v_mfma_f32_16x16x32_fp8_fp8 v[76:79], a[112:113], a[56:57], v[76:79]// 00000000864C: D3F3004C 1D327170
	buffer_load_dwordx4 a[128:131], v72, s[24:27], 0 offen     // 000000008654: E05C1000 80868048
	v_mfma_f32_16x16x32_fp8_fp8 v[76:79], a[114:115], a[58:59], v[76:79]// 00000000865C: D3F3004C 1D327572
	v_mfma_f32_16x16x32_fp8_fp8 v[76:79], a[116:117], a[60:61], v[76:79]// 000000008664: D3F3004C 1D327974
	v_mfma_f32_16x16x32_fp8_fp8 v[76:79], a[118:119], a[62:63], v[76:79]// 00000000866C: D3F3004C 1D327D76
	v_mfma_f32_16x16x32_fp8_fp8 v[80:83], a[112:113], a[64:65], v[80:83]// 000000008674: D3F30050 1D428170
	buffer_load_dwordx4 a[132:135], v72, s[24:27], 0 offen offset:1024// 00000000867C: E05C1400 80868448
	buffer_load_dword v58, s[20:23], 0 offen lds               // 000000008684: E0511000 8005003A
	s_add_u32 m0, 0x100, s50                                   // 00000000868C: 807C32FF 00000100
	v_mfma_f32_16x16x32_fp8_fp8 v[80:83], a[114:115], a[66:67], v[80:83]// 000000008694: D3F30050 1D428572
	v_mfma_f32_16x16x32_fp8_fp8 v[80:83], a[116:117], a[68:69], v[80:83]// 00000000869C: D3F30050 1D428974
	buffer_load_dword v59, s[20:23], 0 offen lds               // 0000000086A4: E0511000 8005003B
	s_add_u32 m0, 0x200, s50                                   // 0000000086AC: 807C32FF 00000200
	v_mfma_f32_16x16x32_fp8_fp8 v[80:83], a[118:119], a[70:71], v[80:83]// 0000000086B4: D3F30050 1D428D76
	v_mfma_f32_16x16x32_fp8_fp8 v[84:87], a[112:113], a[72:73], v[84:87]// 0000000086BC: D3F30054 1D529170
	buffer_load_dword v60, s[20:23], 0 offen lds               // 0000000086C4: E0511000 8005003C
	s_add_u32 m0, 0x300, s50                                   // 0000000086CC: 807C32FF 00000300
	v_mfma_f32_16x16x32_fp8_fp8 v[84:87], a[114:115], a[74:75], v[84:87]// 0000000086D4: D3F30054 1D529572
	v_mfma_f32_16x16x32_fp8_fp8 v[84:87], a[116:117], a[76:77], v[84:87]// 0000000086DC: D3F30054 1D529974
	buffer_load_dword v61, s[20:23], 0 offen lds               // 0000000086E4: E0511000 8005003D
	s_add_u32 m0, 0x400, s50                                   // 0000000086EC: 807C32FF 00000400
	v_mfma_f32_16x16x32_fp8_fp8 v[84:87], a[118:119], a[78:79], v[84:87]// 0000000086F4: D3F30054 1D529D76
	v_mfma_f32_16x16x32_fp8_fp8 v[88:91], a[112:113], a[80:81], v[88:91]// 0000000086FC: D3F30058 1D62A170
	buffer_load_dword v62, s[20:23], 0 offen lds               // 000000008704: E0511000 8005003E
	s_add_u32 m0, 0x500, s50                                   // 00000000870C: 807C32FF 00000500
	v_mfma_f32_16x16x32_fp8_fp8 v[88:91], a[114:115], a[82:83], v[88:91]// 000000008714: D3F30058 1D62A572
	v_mfma_f32_16x16x32_fp8_fp8 v[88:91], a[116:117], a[84:85], v[88:91]// 00000000871C: D3F30058 1D62A974
	buffer_load_dword v63, s[20:23], 0 offen lds               // 000000008724: E0511000 8005003F
	s_add_u32 m0, 0x600, s50                                   // 00000000872C: 807C32FF 00000600
	v_mfma_f32_16x16x32_fp8_fp8 v[88:91], a[118:119], a[86:87], v[88:91]// 000000008734: D3F30058 1D62AD76
	v_mfma_f32_16x16x32_fp8_fp8 v[92:95], a[112:113], a[88:89], v[92:95]// 00000000873C: D3F3005C 1D72B170
	buffer_load_dword v64, s[20:23], 0 offen lds               // 000000008744: E0511000 80050040
	s_add_u32 m0, 0x700, s50                                   // 00000000874C: 807C32FF 00000700
	v_mfma_f32_16x16x32_fp8_fp8 v[92:95], a[114:115], a[90:91], v[92:95]// 000000008754: D3F3005C 1D72B572
	v_mfma_f32_16x16x32_fp8_fp8 v[92:95], a[116:117], a[92:93], v[92:95]// 00000000875C: D3F3005C 1D72B974
	buffer_load_dword v65, s[20:23], 0 offen lds               // 000000008764: E0511000 80050041
	s_add_u32 m0, 0x800, s50                                   // 00000000876C: 807C32FF 00000800
	v_mfma_f32_16x16x32_fp8_fp8 v[92:95], a[118:119], a[94:95], v[92:95]// 000000008774: D3F3005C 1D72BD76
	v_mfma_f32_16x16x32_fp8_fp8 v[96:99], a[112:113], a[96:97], v[96:99]// 00000000877C: D3F30060 1D82C170
	buffer_load_dword v66, s[20:23], 0 offen lds               // 000000008784: E0511000 80050042
	s_add_u32 m0, 0x900, s50                                   // 00000000878C: 807C32FF 00000900
	v_mfma_f32_16x16x32_fp8_fp8 v[96:99], a[114:115], a[98:99], v[96:99]// 000000008794: D3F30060 1D82C572
	v_mfma_f32_16x16x32_fp8_fp8 v[96:99], a[116:117], a[100:101], v[96:99]// 00000000879C: D3F30060 1D82C974
	buffer_load_dword v67, s[20:23], 0 offen lds               // 0000000087A4: E0511000 80050043
	s_add_u32 m0, 0xa00, s50                                   // 0000000087AC: 807C32FF 00000A00
	v_mfma_f32_16x16x32_fp8_fp8 v[96:99], a[118:119], a[102:103], v[96:99]// 0000000087B4: D3F30060 1D82CD76
	v_mfma_f32_16x16x32_fp8_fp8 v[100:103], a[112:113], a[104:105], v[100:103]// 0000000087BC: D3F30064 1D92D170
	buffer_load_dword v68, s[20:23], 0 offen lds               // 0000000087C4: E0511000 80050044
	s_add_u32 m0, 0xb00, s50                                   // 0000000087CC: 807C32FF 00000B00
	v_mfma_f32_16x16x32_fp8_fp8 v[100:103], a[114:115], a[106:107], v[100:103]// 0000000087D4: D3F30064 1D92D572
	v_mfma_f32_16x16x32_fp8_fp8 v[100:103], a[116:117], a[108:109], v[100:103]// 0000000087DC: D3F30064 1D92D974
	buffer_load_dword v69, s[20:23], 0 offen lds               // 0000000087E4: E0511000 80050045
	s_add_u32 m0, 0xc00, s50                                   // 0000000087EC: 807C32FF 00000C00
	v_mfma_f32_16x16x32_fp8_fp8 v[100:103], a[118:119], a[110:111], v[100:103]// 0000000087F4: D3F30064 1D92DD76
	buffer_load_dword v70, s[20:23], 0 offen lds               // 0000000087FC: E0511000 80050046
	s_add_u32 m0, 0xd00, s50                                   // 000000008804: 807C32FF 00000D00
	buffer_load_dword v71, s[20:23], 0 offen lds               // 00000000880C: E0511000 80050047
	s_add_u32 m0, 0, s48                                       // 000000008814: 807C3080
	s_waitcnt vmcnt(16)                                        // 000000008818: BF8C4F70
	s_barrier                                                  // 00000000881C: BF8A0000
	v_mfma_f32_16x16x32_fp8_fp8 v[104:107], a[120:121], a[56:57], v[104:107]// 000000008820: D3F30068 1DA27178
	buffer_load_dwordx4 a[112:115], v72, s[84:87], 0 offen     // 000000008828: E05C1000 80957048
	v_mfma_f32_16x16x32_fp8_fp8 v[104:107], a[122:123], a[58:59], v[104:107]// 000000008830: D3F30068 1DA2757A
	v_mfma_f32_16x16x32_fp8_fp8 v[104:107], a[124:125], a[60:61], v[104:107]// 000000008838: D3F30068 1DA2797C
	ds_read_b128 a[0:3], v2 offset:14464                       // 000000008840: DBFE3880 00000002
	ds_read_b128 a[4:7], v2 offset:14528                       // 000000008848: DBFE38C0 04000002
	v_mfma_f32_16x16x32_fp8_fp8 v[104:107], a[126:127], a[62:63], v[104:107]// 000000008850: D3F30068 1DA27D7E
	v_mfma_f32_16x16x32_fp8_fp8 v[108:111], a[120:121], a[64:65], v[108:111]// 000000008858: D3F3006C 1DB28178
	buffer_load_dwordx4 a[116:119], v72, s[84:87], 0 offen offset:1024// 000000008860: E05C1400 80957448
	v_mfma_f32_16x16x32_fp8_fp8 v[108:111], a[122:123], a[66:67], v[108:111]// 000000008868: D3F3006C 1DB2857A
	v_mfma_f32_16x16x32_fp8_fp8 v[108:111], a[124:125], a[68:69], v[108:111]// 000000008870: D3F3006C 1DB2897C
	ds_read_b128 a[8:11], v2 offset:14976                      // 000000008878: DBFE3A80 08000002
	ds_read_b128 a[12:15], v2 offset:15040                     // 000000008880: DBFE3AC0 0C000002
	v_mfma_f32_16x16x32_fp8_fp8 v[108:111], a[126:127], a[70:71], v[108:111]// 000000008888: D3F3006C 1DB28D7E
	v_mfma_f32_16x16x32_fp8_fp8 v[112:115], a[120:121], a[72:73], v[112:115]// 000000008890: D3F30070 1DC29178
	v_mfma_f32_16x16x32_fp8_fp8 v[112:115], a[122:123], a[74:75], v[112:115]// 000000008898: D3F30070 1DC2957A
	v_mfma_f32_16x16x32_fp8_fp8 v[112:115], a[124:125], a[76:77], v[112:115]// 0000000088A0: D3F30070 1DC2997C
	ds_read_b128 a[16:19], v2 offset:15488                     // 0000000088A8: DBFE3C80 10000002
	ds_read_b128 a[20:23], v2 offset:15552                     // 0000000088B0: DBFE3CC0 14000002
	v_mfma_f32_16x16x32_fp8_fp8 v[112:115], a[126:127], a[78:79], v[112:115]// 0000000088B8: D3F30070 1DC29D7E
	v_mfma_f32_16x16x32_fp8_fp8 v[116:119], a[120:121], a[80:81], v[116:119]// 0000000088C0: D3F30074 1DD2A178
	v_mfma_f32_16x16x32_fp8_fp8 v[116:119], a[122:123], a[82:83], v[116:119]// 0000000088C8: D3F30074 1DD2A57A
	v_mfma_f32_16x16x32_fp8_fp8 v[116:119], a[124:125], a[84:85], v[116:119]// 0000000088D0: D3F30074 1DD2A97C
	ds_read_b128 a[24:27], v2 offset:16000                     // 0000000088D8: DBFE3E80 18000002
	ds_read_b128 a[28:31], v2 offset:16064                     // 0000000088E0: DBFE3EC0 1C000002
	v_mfma_f32_16x16x32_fp8_fp8 v[116:119], a[126:127], a[86:87], v[116:119]// 0000000088E8: D3F30074 1DD2AD7E
	v_mfma_f32_16x16x32_fp8_fp8 v[120:123], a[120:121], a[88:89], v[120:123]// 0000000088F0: D3F30078 1DE2B178
	v_mfma_f32_16x16x32_fp8_fp8 v[120:123], a[122:123], a[90:91], v[120:123]// 0000000088F8: D3F30078 1DE2B57A
	v_mfma_f32_16x16x32_fp8_fp8 v[120:123], a[124:125], a[92:93], v[120:123]// 000000008900: D3F30078 1DE2B97C
	ds_read_b128 a[32:35], v2 offset:16512                     // 000000008908: DBFE4080 20000002
	ds_read_b128 a[36:39], v2 offset:16576                     // 000000008910: DBFE40C0 24000002
	v_mfma_f32_16x16x32_fp8_fp8 v[120:123], a[126:127], a[94:95], v[120:123]// 000000008918: D3F30078 1DE2BD7E
	v_mfma_f32_16x16x32_fp8_fp8 v[124:127], a[120:121], a[96:97], v[124:127]// 000000008920: D3F3007C 1DF2C178
	s_add_u32 s60, 0x180, s80                                  // 000000008928: 803C50FF 00000180
	s_cmp_lt_u32 s60, s81                                      // 000000008930: BF0A513C
	s_cselect_b32 s57, s57, 0                                  // 000000008934: 85398039
	v_mfma_f32_16x16x32_fp8_fp8 v[124:127], a[122:123], a[98:99], v[124:127]// 000000008938: D3F3007C 1DF2C57A
	s_add_u32 s60, 0x100, s80                                  // 000000008940: 803C50FF 00000100
	s_cmp_lt_u32 s60, s81                                      // 000000008948: BF0A513C
	s_cselect_b32 s58, s58, 0                                  // 00000000894C: 853A803A
	v_mfma_f32_16x16x32_fp8_fp8 v[124:127], a[124:125], a[100:101], v[124:127]// 000000008950: D3F3007C 1DF2C97C
	ds_read_b128 a[40:43], v2 offset:17024                     // 000000008958: DBFE4280 28000002
	ds_read_b128 a[44:47], v2 offset:17088                     // 000000008960: DBFE42C0 2C000002
	s_add_u32 s60, 0x100, s80                                  // 000000008968: 803C50FF 00000100
	s_cmp_lt_u32 s60, s81                                      // 000000008970: BF0A513C
	s_cselect_b32 s83, s83, 0                                  // 000000008974: 85538053
	v_mfma_f32_16x16x32_fp8_fp8 v[124:127], a[126:127], a[102:103], v[124:127]// 000000008978: D3F3007C 1DF2CD7E
	s_add_u32 s24, s58, s24                                    // 000000008980: 8018183A
	s_addc_u32 s25, 0, s25                                     // 000000008984: 82191980
	v_mfma_f32_16x16x32_fp8_fp8 v[128:131], a[120:121], a[104:105], v[128:131]// 000000008988: D3F30080 1E02D178
	s_add_u32 s20, s57, s20                                    // 000000008990: 80141439
	s_addc_u32 s21, 0, s21                                     // 000000008994: 82151580
	v_mfma_f32_16x16x32_fp8_fp8 v[128:131], a[122:123], a[106:107], v[128:131]// 000000008998: D3F30080 1E02D57A
	s_add_u32 s84, s83, s84                                    // 0000000089A0: 80545453
	s_addc_u32 s85, 0, s85                                     // 0000000089A4: 82555580
	v_mfma_f32_16x16x32_fp8_fp8 v[128:131], a[124:125], a[108:109], v[128:131]// 0000000089A8: D3F30080 1E02D97C
	ds_read_b128 a[48:51], v2 offset:17536                     // 0000000089B0: DBFE4480 30000002
	ds_read_b128 a[52:55], v2 offset:17600                     // 0000000089B8: DBFE44C0 34000002
	v_mfma_f32_16x16x32_fp8_fp8 v[128:131], a[126:127], a[110:111], v[128:131]// 0000000089C0: D3F30080 1E02DD7E
	s_addk_i32 s80, 0x80                                       // 0000000089C8: B7500080
	s_cmp_lt_i32 s80, s81                                      // 0000000089CC: BF045150
	s_cbranch_scc0 label_19BF                                  // 0000000089D0: BF8401C7
	s_waitcnt vmcnt(16) lgkmcnt(0)                             // 0000000089D4: BF8C4070
	v_mfma_f32_16x16x32_fp8_fp8 v[76:79], a[128:129], a[0:1], v[76:79]// 0000000089D8: D3F3004C 1D320180
	buffer_load_dwordx4 a[120:123], v72, s[24:27], 0 offen     // 0000000089E0: E05C1000 80867848
	v_mfma_f32_16x16x32_fp8_fp8 v[76:79], a[130:131], a[2:3], v[76:79]// 0000000089E8: D3F3004C 1D320582
	v_mfma_f32_16x16x32_fp8_fp8 v[76:79], a[132:133], a[4:5], v[76:79]// 0000000089F0: D3F3004C 1D320984
	v_mfma_f32_16x16x32_fp8_fp8 v[76:79], a[134:135], a[6:7], v[76:79]// 0000000089F8: D3F3004C 1D320D86
	v_mfma_f32_16x16x32_fp8_fp8 v[80:83], a[128:129], a[8:9], v[80:83]// 000000008A00: D3F30050 1D421180
	buffer_load_dwordx4 a[124:127], v72, s[24:27], 0 offen offset:1024// 000000008A08: E05C1400 80867C48
	buffer_load_dword v58, s[20:23], 0 offen lds               // 000000008A10: E0511000 8005003A
	s_add_u32 m0, 0x100, s48                                   // 000000008A18: 807C30FF 00000100
	v_mfma_f32_16x16x32_fp8_fp8 v[80:83], a[130:131], a[10:11], v[80:83]// 000000008A20: D3F30050 1D421582
	v_mfma_f32_16x16x32_fp8_fp8 v[80:83], a[132:133], a[12:13], v[80:83]// 000000008A28: D3F30050 1D421984
	buffer_load_dword v59, s[20:23], 0 offen lds               // 000000008A30: E0511000 8005003B
	s_add_u32 m0, 0x200, s48                                   // 000000008A38: 807C30FF 00000200
	v_mfma_f32_16x16x32_fp8_fp8 v[80:83], a[134:135], a[14:15], v[80:83]// 000000008A40: D3F30050 1D421D86
	v_mfma_f32_16x16x32_fp8_fp8 v[84:87], a[128:129], a[16:17], v[84:87]// 000000008A48: D3F30054 1D522180
	buffer_load_dword v60, s[20:23], 0 offen lds               // 000000008A50: E0511000 8005003C
	s_add_u32 m0, 0x300, s48                                   // 000000008A58: 807C30FF 00000300
	v_mfma_f32_16x16x32_fp8_fp8 v[84:87], a[130:131], a[18:19], v[84:87]// 000000008A60: D3F30054 1D522582
	v_mfma_f32_16x16x32_fp8_fp8 v[84:87], a[132:133], a[20:21], v[84:87]// 000000008A68: D3F30054 1D522984
	buffer_load_dword v61, s[20:23], 0 offen lds               // 000000008A70: E0511000 8005003D
	s_add_u32 m0, 0x400, s48                                   // 000000008A78: 807C30FF 00000400
	v_mfma_f32_16x16x32_fp8_fp8 v[84:87], a[134:135], a[22:23], v[84:87]// 000000008A80: D3F30054 1D522D86
	v_mfma_f32_16x16x32_fp8_fp8 v[88:91], a[128:129], a[24:25], v[88:91]// 000000008A88: D3F30058 1D623180
	buffer_load_dword v62, s[20:23], 0 offen lds               // 000000008A90: E0511000 8005003E
	s_add_u32 m0, 0x500, s48                                   // 000000008A98: 807C30FF 00000500
	v_mfma_f32_16x16x32_fp8_fp8 v[88:91], a[130:131], a[26:27], v[88:91]// 000000008AA0: D3F30058 1D623582
	v_mfma_f32_16x16x32_fp8_fp8 v[88:91], a[132:133], a[28:29], v[88:91]// 000000008AA8: D3F30058 1D623984
	buffer_load_dword v63, s[20:23], 0 offen lds               // 000000008AB0: E0511000 8005003F
	s_add_u32 m0, 0x600, s48                                   // 000000008AB8: 807C30FF 00000600
	v_mfma_f32_16x16x32_fp8_fp8 v[88:91], a[134:135], a[30:31], v[88:91]// 000000008AC0: D3F30058 1D623D86
	v_mfma_f32_16x16x32_fp8_fp8 v[92:95], a[128:129], a[32:33], v[92:95]// 000000008AC8: D3F3005C 1D724180
	buffer_load_dword v64, s[20:23], 0 offen lds               // 000000008AD0: E0511000 80050040
	s_add_u32 m0, 0x700, s48                                   // 000000008AD8: 807C30FF 00000700
	v_mfma_f32_16x16x32_fp8_fp8 v[92:95], a[130:131], a[34:35], v[92:95]// 000000008AE0: D3F3005C 1D724582
	v_mfma_f32_16x16x32_fp8_fp8 v[92:95], a[132:133], a[36:37], v[92:95]// 000000008AE8: D3F3005C 1D724984
	buffer_load_dword v65, s[20:23], 0 offen lds               // 000000008AF0: E0511000 80050041
	s_add_u32 m0, 0x800, s48                                   // 000000008AF8: 807C30FF 00000800
	v_mfma_f32_16x16x32_fp8_fp8 v[92:95], a[134:135], a[38:39], v[92:95]// 000000008B00: D3F3005C 1D724D86
	v_mfma_f32_16x16x32_fp8_fp8 v[96:99], a[128:129], a[40:41], v[96:99]// 000000008B08: D3F30060 1D825180
	buffer_load_dword v66, s[20:23], 0 offen lds               // 000000008B10: E0511000 80050042
	s_add_u32 m0, 0x900, s48                                   // 000000008B18: 807C30FF 00000900
	v_mfma_f32_16x16x32_fp8_fp8 v[96:99], a[130:131], a[42:43], v[96:99]// 000000008B20: D3F30060 1D825582
	v_mfma_f32_16x16x32_fp8_fp8 v[96:99], a[132:133], a[44:45], v[96:99]// 000000008B28: D3F30060 1D825984
	buffer_load_dword v67, s[20:23], 0 offen lds               // 000000008B30: E0511000 80050043
	s_add_u32 m0, 0xa00, s48                                   // 000000008B38: 807C30FF 00000A00
	v_mfma_f32_16x16x32_fp8_fp8 v[96:99], a[134:135], a[46:47], v[96:99]// 000000008B40: D3F30060 1D825D86
	v_mfma_f32_16x16x32_fp8_fp8 v[100:103], a[128:129], a[48:49], v[100:103]// 000000008B48: D3F30064 1D926180
	buffer_load_dword v68, s[20:23], 0 offen lds               // 000000008B50: E0511000 80050044
	s_add_u32 m0, 0xb00, s48                                   // 000000008B58: 807C30FF 00000B00
	v_mfma_f32_16x16x32_fp8_fp8 v[100:103], a[130:131], a[50:51], v[100:103]// 000000008B60: D3F30064 1D926582
	v_mfma_f32_16x16x32_fp8_fp8 v[100:103], a[132:133], a[52:53], v[100:103]// 000000008B68: D3F30064 1D926984
	buffer_load_dword v69, s[20:23], 0 offen lds               // 000000008B70: E0511000 80050045
	s_add_u32 m0, 0xc00, s48                                   // 000000008B78: 807C30FF 00000C00
	v_mfma_f32_16x16x32_fp8_fp8 v[100:103], a[134:135], a[54:55], v[100:103]// 000000008B80: D3F30064 1D926D86
	buffer_load_dword v70, s[20:23], 0 offen lds               // 000000008B88: E0511000 80050046
	s_add_u32 m0, 0xd00, s48                                   // 000000008B90: 807C30FF 00000D00
	buffer_load_dword v71, s[20:23], 0 offen lds               // 000000008B98: E0511000 80050047
	s_add_u32 m0, 0, s49                                       // 000000008BA0: 807C3180
	s_waitcnt vmcnt(16)                                        // 000000008BA4: BF8C4F70
	s_barrier                                                  // 000000008BA8: BF8A0000
	v_mfma_f32_16x16x32_fp8_fp8 v[104:107], a[112:113], a[0:1], v[104:107]// 000000008BAC: D3F30068 1DA20170
	buffer_load_dwordx4 a[128:131], v72, s[84:87], 0 offen     // 000000008BB4: E05C1000 80958048
	v_mfma_f32_16x16x32_fp8_fp8 v[104:107], a[114:115], a[2:3], v[104:107]// 000000008BBC: D3F30068 1DA20572
	v_mfma_f32_16x16x32_fp8_fp8 v[104:107], a[116:117], a[4:5], v[104:107]// 000000008BC4: D3F30068 1DA20974
	ds_read_b128 a[56:59], v2 offset:28928                     // 000000008BCC: DBFE7100 38000002
	ds_read_b128 a[60:63], v2 offset:28992                     // 000000008BD4: DBFE7140 3C000002
	v_mfma_f32_16x16x32_fp8_fp8 v[104:107], a[118:119], a[6:7], v[104:107]// 000000008BDC: D3F30068 1DA20D76
	v_mfma_f32_16x16x32_fp8_fp8 v[108:111], a[112:113], a[8:9], v[108:111]// 000000008BE4: D3F3006C 1DB21170
	buffer_load_dwordx4 a[132:135], v72, s[84:87], 0 offen offset:1024// 000000008BEC: E05C1400 80958448
	v_mfma_f32_16x16x32_fp8_fp8 v[108:111], a[114:115], a[10:11], v[108:111]// 000000008BF4: D3F3006C 1DB21572
	v_mfma_f32_16x16x32_fp8_fp8 v[108:111], a[116:117], a[12:13], v[108:111]// 000000008BFC: D3F3006C 1DB21974
	ds_read_b128 a[64:67], v2 offset:29440                     // 000000008C04: DBFE7300 40000002
	ds_read_b128 a[68:71], v2 offset:29504                     // 000000008C0C: DBFE7340 44000002
	v_mfma_f32_16x16x32_fp8_fp8 v[108:111], a[118:119], a[14:15], v[108:111]// 000000008C14: D3F3006C 1DB21D76
	v_mfma_f32_16x16x32_fp8_fp8 v[112:115], a[112:113], a[16:17], v[112:115]// 000000008C1C: D3F30070 1DC22170
	v_mfma_f32_16x16x32_fp8_fp8 v[112:115], a[114:115], a[18:19], v[112:115]// 000000008C24: D3F30070 1DC22572
	v_mfma_f32_16x16x32_fp8_fp8 v[112:115], a[116:117], a[20:21], v[112:115]// 000000008C2C: D3F30070 1DC22974
	ds_read_b128 a[72:75], v2 offset:29952                     // 000000008C34: DBFE7500 48000002
	ds_read_b128 a[76:79], v2 offset:30016                     // 000000008C3C: DBFE7540 4C000002
	v_mfma_f32_16x16x32_fp8_fp8 v[112:115], a[118:119], a[22:23], v[112:115]// 000000008C44: D3F30070 1DC22D76
	v_mfma_f32_16x16x32_fp8_fp8 v[116:119], a[112:113], a[24:25], v[116:119]// 000000008C4C: D3F30074 1DD23170
	v_mfma_f32_16x16x32_fp8_fp8 v[116:119], a[114:115], a[26:27], v[116:119]// 000000008C54: D3F30074 1DD23572
	v_mfma_f32_16x16x32_fp8_fp8 v[116:119], a[116:117], a[28:29], v[116:119]// 000000008C5C: D3F30074 1DD23974
	ds_read_b128 a[80:83], v2 offset:30464                     // 000000008C64: DBFE7700 50000002
	ds_read_b128 a[84:87], v2 offset:30528                     // 000000008C6C: DBFE7740 54000002
	v_mfma_f32_16x16x32_fp8_fp8 v[116:119], a[118:119], a[30:31], v[116:119]// 000000008C74: D3F30074 1DD23D76
	v_mfma_f32_16x16x32_fp8_fp8 v[120:123], a[112:113], a[32:33], v[120:123]// 000000008C7C: D3F30078 1DE24170
	v_mfma_f32_16x16x32_fp8_fp8 v[120:123], a[114:115], a[34:35], v[120:123]// 000000008C84: D3F30078 1DE24572
	v_mfma_f32_16x16x32_fp8_fp8 v[120:123], a[116:117], a[36:37], v[120:123]// 000000008C8C: D3F30078 1DE24974
	ds_read_b128 a[88:91], v2 offset:30976                     // 000000008C94: DBFE7900 58000002
	ds_read_b128 a[92:95], v2 offset:31040                     // 000000008C9C: DBFE7940 5C000002
	v_mfma_f32_16x16x32_fp8_fp8 v[120:123], a[118:119], a[38:39], v[120:123]// 000000008CA4: D3F30078 1DE24D76
	v_mfma_f32_16x16x32_fp8_fp8 v[124:127], a[112:113], a[40:41], v[124:127]// 000000008CAC: D3F3007C 1DF25170
	s_add_u32 s60, 0x180, s80                                  // 000000008CB4: 803C50FF 00000180
	s_cmp_lt_u32 s60, s81                                      // 000000008CBC: BF0A513C
	s_cselect_b32 s57, s57, 0                                  // 000000008CC0: 85398039
	v_mfma_f32_16x16x32_fp8_fp8 v[124:127], a[114:115], a[42:43], v[124:127]// 000000008CC4: D3F3007C 1DF25572
	s_add_u32 s60, 0x100, s80                                  // 000000008CCC: 803C50FF 00000100
	s_cmp_lt_u32 s60, s81                                      // 000000008CD4: BF0A513C
	s_cselect_b32 s58, s58, 0                                  // 000000008CD8: 853A803A
	v_mfma_f32_16x16x32_fp8_fp8 v[124:127], a[116:117], a[44:45], v[124:127]// 000000008CDC: D3F3007C 1DF25974
	ds_read_b128 a[96:99], v2 offset:31488                     // 000000008CE4: DBFE7B00 60000002
	ds_read_b128 a[100:103], v2 offset:31552                   // 000000008CEC: DBFE7B40 64000002
	s_add_u32 s60, 0x100, s80                                  // 000000008CF4: 803C50FF 00000100
	s_cmp_lt_u32 s60, s81                                      // 000000008CFC: BF0A513C
	s_cselect_b32 s83, s83, 0                                  // 000000008D00: 85538053
	v_mfma_f32_16x16x32_fp8_fp8 v[124:127], a[118:119], a[46:47], v[124:127]// 000000008D04: D3F3007C 1DF25D76
	s_add_u32 s24, s58, s24                                    // 000000008D0C: 8018183A
	s_addc_u32 s25, 0, s25                                     // 000000008D10: 82191980
	v_mfma_f32_16x16x32_fp8_fp8 v[128:131], a[112:113], a[48:49], v[128:131]// 000000008D14: D3F30080 1E026170
	s_add_u32 s20, s57, s20                                    // 000000008D1C: 80141439
	s_addc_u32 s21, 0, s21                                     // 000000008D20: 82151580
	v_mfma_f32_16x16x32_fp8_fp8 v[128:131], a[114:115], a[50:51], v[128:131]// 000000008D24: D3F30080 1E026572
	s_add_u32 s84, s83, s84                                    // 000000008D2C: 80545453
	s_addc_u32 s85, 0, s85                                     // 000000008D30: 82555580
	v_mfma_f32_16x16x32_fp8_fp8 v[128:131], a[116:117], a[52:53], v[128:131]// 000000008D34: D3F30080 1E026974
	ds_read_b128 a[104:107], v2 offset:32000                   // 000000008D3C: DBFE7D00 68000002
	ds_read_b128 a[108:111], v2 offset:32064                   // 000000008D44: DBFE7D40 6C000002
	v_mfma_f32_16x16x32_fp8_fp8 v[128:131], a[118:119], a[54:55], v[128:131]// 000000008D4C: D3F30080 1E026D76
	s_addk_i32 s80, 0x80                                       // 000000008D54: B7500080
	s_cmp_lt_i32 s80, s81                                      // 000000008D58: BF045150
	s_cbranch_scc0 label_19BF                                  // 000000008D5C: BF8400E4
	s_waitcnt vmcnt(16) lgkmcnt(0)                             // 000000008D60: BF8C4070
	v_mfma_f32_16x16x32_fp8_fp8 v[76:79], a[120:121], a[56:57], v[76:79]// 000000008D64: D3F3004C 1D327178
	buffer_load_dwordx4 a[112:115], v72, s[24:27], 0 offen     // 000000008D6C: E05C1000 80867048
	v_mfma_f32_16x16x32_fp8_fp8 v[76:79], a[122:123], a[58:59], v[76:79]// 000000008D74: D3F3004C 1D32757A
	v_mfma_f32_16x16x32_fp8_fp8 v[76:79], a[124:125], a[60:61], v[76:79]// 000000008D7C: D3F3004C 1D32797C
	v_mfma_f32_16x16x32_fp8_fp8 v[76:79], a[126:127], a[62:63], v[76:79]// 000000008D84: D3F3004C 1D327D7E
	v_mfma_f32_16x16x32_fp8_fp8 v[80:83], a[120:121], a[64:65], v[80:83]// 000000008D8C: D3F30050 1D428178
	buffer_load_dwordx4 a[116:119], v72, s[24:27], 0 offen offset:1024// 000000008D94: E05C1400 80867448
	buffer_load_dword v58, s[20:23], 0 offen lds               // 000000008D9C: E0511000 8005003A
	s_add_u32 m0, 0x100, s49                                   // 000000008DA4: 807C31FF 00000100
	v_mfma_f32_16x16x32_fp8_fp8 v[80:83], a[122:123], a[66:67], v[80:83]// 000000008DAC: D3F30050 1D42857A
	v_mfma_f32_16x16x32_fp8_fp8 v[80:83], a[124:125], a[68:69], v[80:83]// 000000008DB4: D3F30050 1D42897C
	buffer_load_dword v59, s[20:23], 0 offen lds               // 000000008DBC: E0511000 8005003B
	s_add_u32 m0, 0x200, s49                                   // 000000008DC4: 807C31FF 00000200
	v_mfma_f32_16x16x32_fp8_fp8 v[80:83], a[126:127], a[70:71], v[80:83]// 000000008DCC: D3F30050 1D428D7E
	v_mfma_f32_16x16x32_fp8_fp8 v[84:87], a[120:121], a[72:73], v[84:87]// 000000008DD4: D3F30054 1D529178
	buffer_load_dword v60, s[20:23], 0 offen lds               // 000000008DDC: E0511000 8005003C
	s_add_u32 m0, 0x300, s49                                   // 000000008DE4: 807C31FF 00000300
	v_mfma_f32_16x16x32_fp8_fp8 v[84:87], a[122:123], a[74:75], v[84:87]// 000000008DEC: D3F30054 1D52957A
	v_mfma_f32_16x16x32_fp8_fp8 v[84:87], a[124:125], a[76:77], v[84:87]// 000000008DF4: D3F30054 1D52997C
	buffer_load_dword v61, s[20:23], 0 offen lds               // 000000008DFC: E0511000 8005003D
	s_add_u32 m0, 0x400, s49                                   // 000000008E04: 807C31FF 00000400
	v_mfma_f32_16x16x32_fp8_fp8 v[84:87], a[126:127], a[78:79], v[84:87]// 000000008E0C: D3F30054 1D529D7E
	v_mfma_f32_16x16x32_fp8_fp8 v[88:91], a[120:121], a[80:81], v[88:91]// 000000008E14: D3F30058 1D62A178
	buffer_load_dword v62, s[20:23], 0 offen lds               // 000000008E1C: E0511000 8005003E
	s_add_u32 m0, 0x500, s49                                   // 000000008E24: 807C31FF 00000500
	v_mfma_f32_16x16x32_fp8_fp8 v[88:91], a[122:123], a[82:83], v[88:91]// 000000008E2C: D3F30058 1D62A57A
	v_mfma_f32_16x16x32_fp8_fp8 v[88:91], a[124:125], a[84:85], v[88:91]// 000000008E34: D3F30058 1D62A97C
	buffer_load_dword v63, s[20:23], 0 offen lds               // 000000008E3C: E0511000 8005003F
	s_add_u32 m0, 0x600, s49                                   // 000000008E44: 807C31FF 00000600
	v_mfma_f32_16x16x32_fp8_fp8 v[88:91], a[126:127], a[86:87], v[88:91]// 000000008E4C: D3F30058 1D62AD7E
	v_mfma_f32_16x16x32_fp8_fp8 v[92:95], a[120:121], a[88:89], v[92:95]// 000000008E54: D3F3005C 1D72B178
	buffer_load_dword v64, s[20:23], 0 offen lds               // 000000008E5C: E0511000 80050040
	s_add_u32 m0, 0x700, s49                                   // 000000008E64: 807C31FF 00000700
	v_mfma_f32_16x16x32_fp8_fp8 v[92:95], a[122:123], a[90:91], v[92:95]// 000000008E6C: D3F3005C 1D72B57A
	v_mfma_f32_16x16x32_fp8_fp8 v[92:95], a[124:125], a[92:93], v[92:95]// 000000008E74: D3F3005C 1D72B97C
	buffer_load_dword v65, s[20:23], 0 offen lds               // 000000008E7C: E0511000 80050041
	s_add_u32 m0, 0x800, s49                                   // 000000008E84: 807C31FF 00000800
	v_mfma_f32_16x16x32_fp8_fp8 v[92:95], a[126:127], a[94:95], v[92:95]// 000000008E8C: D3F3005C 1D72BD7E
	v_mfma_f32_16x16x32_fp8_fp8 v[96:99], a[120:121], a[96:97], v[96:99]// 000000008E94: D3F30060 1D82C178
	buffer_load_dword v66, s[20:23], 0 offen lds               // 000000008E9C: E0511000 80050042
	s_add_u32 m0, 0x900, s49                                   // 000000008EA4: 807C31FF 00000900
	v_mfma_f32_16x16x32_fp8_fp8 v[96:99], a[122:123], a[98:99], v[96:99]// 000000008EAC: D3F30060 1D82C57A
	v_mfma_f32_16x16x32_fp8_fp8 v[96:99], a[124:125], a[100:101], v[96:99]// 000000008EB4: D3F30060 1D82C97C
	buffer_load_dword v67, s[20:23], 0 offen lds               // 000000008EBC: E0511000 80050043
	s_add_u32 m0, 0xa00, s49                                   // 000000008EC4: 807C31FF 00000A00
	v_mfma_f32_16x16x32_fp8_fp8 v[96:99], a[126:127], a[102:103], v[96:99]// 000000008ECC: D3F30060 1D82CD7E
	v_mfma_f32_16x16x32_fp8_fp8 v[100:103], a[120:121], a[104:105], v[100:103]// 000000008ED4: D3F30064 1D92D178
	buffer_load_dword v68, s[20:23], 0 offen lds               // 000000008EDC: E0511000 80050044
	s_add_u32 m0, 0xb00, s49                                   // 000000008EE4: 807C31FF 00000B00
	v_mfma_f32_16x16x32_fp8_fp8 v[100:103], a[122:123], a[106:107], v[100:103]// 000000008EEC: D3F30064 1D92D57A
	v_mfma_f32_16x16x32_fp8_fp8 v[100:103], a[124:125], a[108:109], v[100:103]// 000000008EF4: D3F30064 1D92D97C
	buffer_load_dword v69, s[20:23], 0 offen lds               // 000000008EFC: E0511000 80050045
	s_add_u32 m0, 0xc00, s49                                   // 000000008F04: 807C31FF 00000C00
	v_mfma_f32_16x16x32_fp8_fp8 v[100:103], a[126:127], a[110:111], v[100:103]// 000000008F0C: D3F30064 1D92DD7E
	buffer_load_dword v70, s[20:23], 0 offen lds               // 000000008F14: E0511000 80050046
	s_add_u32 m0, 0xd00, s49                                   // 000000008F1C: 807C31FF 00000D00
	buffer_load_dword v71, s[20:23], 0 offen lds               // 000000008F24: E0511000 80050047
	s_add_u32 m0, 0, s50                                       // 000000008F2C: 807C3280
	s_waitcnt vmcnt(16)                                        // 000000008F30: BF8C4F70
	s_barrier                                                  // 000000008F34: BF8A0000
	v_mfma_f32_16x16x32_fp8_fp8 v[104:107], a[128:129], a[56:57], v[104:107]// 000000008F38: D3F30068 1DA27180
	buffer_load_dwordx4 a[120:123], v72, s[84:87], 0 offen     // 000000008F40: E05C1000 80957848
	v_mfma_f32_16x16x32_fp8_fp8 v[104:107], a[130:131], a[58:59], v[104:107]// 000000008F48: D3F30068 1DA27582
	v_mfma_f32_16x16x32_fp8_fp8 v[104:107], a[132:133], a[60:61], v[104:107]// 000000008F50: D3F30068 1DA27984
	ds_read_b128 a[0:3], v2                                    // 000000008F58: DBFE0000 00000002
	ds_read_b128 a[4:7], v2 offset:64                          // 000000008F60: DBFE0040 04000002
	v_mfma_f32_16x16x32_fp8_fp8 v[104:107], a[134:135], a[62:63], v[104:107]// 000000008F68: D3F30068 1DA27D86
	v_mfma_f32_16x16x32_fp8_fp8 v[108:111], a[128:129], a[64:65], v[108:111]// 000000008F70: D3F3006C 1DB28180
	buffer_load_dwordx4 a[124:127], v72, s[84:87], 0 offen offset:1024// 000000008F78: E05C1400 80957C48
	v_mfma_f32_16x16x32_fp8_fp8 v[108:111], a[130:131], a[66:67], v[108:111]// 000000008F80: D3F3006C 1DB28582
	v_mfma_f32_16x16x32_fp8_fp8 v[108:111], a[132:133], a[68:69], v[108:111]// 000000008F88: D3F3006C 1DB28984
	ds_read_b128 a[8:11], v2 offset:512                        // 000000008F90: DBFE0200 08000002
	ds_read_b128 a[12:15], v2 offset:576                       // 000000008F98: DBFE0240 0C000002
	v_mfma_f32_16x16x32_fp8_fp8 v[108:111], a[134:135], a[70:71], v[108:111]// 000000008FA0: D3F3006C 1DB28D86
	v_mfma_f32_16x16x32_fp8_fp8 v[112:115], a[128:129], a[72:73], v[112:115]// 000000008FA8: D3F30070 1DC29180
	v_mfma_f32_16x16x32_fp8_fp8 v[112:115], a[130:131], a[74:75], v[112:115]// 000000008FB0: D3F30070 1DC29582
	v_mfma_f32_16x16x32_fp8_fp8 v[112:115], a[132:133], a[76:77], v[112:115]// 000000008FB8: D3F30070 1DC29984
	ds_read_b128 a[16:19], v2 offset:1024                      // 000000008FC0: DBFE0400 10000002
	ds_read_b128 a[20:23], v2 offset:1088                      // 000000008FC8: DBFE0440 14000002
	v_mfma_f32_16x16x32_fp8_fp8 v[112:115], a[134:135], a[78:79], v[112:115]// 000000008FD0: D3F30070 1DC29D86
	v_mfma_f32_16x16x32_fp8_fp8 v[116:119], a[128:129], a[80:81], v[116:119]// 000000008FD8: D3F30074 1DD2A180
	v_mfma_f32_16x16x32_fp8_fp8 v[116:119], a[130:131], a[82:83], v[116:119]// 000000008FE0: D3F30074 1DD2A582
	v_mfma_f32_16x16x32_fp8_fp8 v[116:119], a[132:133], a[84:85], v[116:119]// 000000008FE8: D3F30074 1DD2A984
	ds_read_b128 a[24:27], v2 offset:1536                      // 000000008FF0: DBFE0600 18000002
	ds_read_b128 a[28:31], v2 offset:1600                      // 000000008FF8: DBFE0640 1C000002
	v_mfma_f32_16x16x32_fp8_fp8 v[116:119], a[134:135], a[86:87], v[116:119]// 000000009000: D3F30074 1DD2AD86
	v_mfma_f32_16x16x32_fp8_fp8 v[120:123], a[128:129], a[88:89], v[120:123]// 000000009008: D3F30078 1DE2B180
	v_mfma_f32_16x16x32_fp8_fp8 v[120:123], a[130:131], a[90:91], v[120:123]// 000000009010: D3F30078 1DE2B582
	v_mfma_f32_16x16x32_fp8_fp8 v[120:123], a[132:133], a[92:93], v[120:123]// 000000009018: D3F30078 1DE2B984
	ds_read_b128 a[32:35], v2 offset:2048                      // 000000009020: DBFE0800 20000002
	ds_read_b128 a[36:39], v2 offset:2112                      // 000000009028: DBFE0840 24000002
	v_mfma_f32_16x16x32_fp8_fp8 v[120:123], a[134:135], a[94:95], v[120:123]// 000000009030: D3F30078 1DE2BD86
	v_mfma_f32_16x16x32_fp8_fp8 v[124:127], a[128:129], a[96:97], v[124:127]// 000000009038: D3F3007C 1DF2C180
	s_add_u32 s60, 0x180, s80                                  // 000000009040: 803C50FF 00000180
	s_cmp_lt_u32 s60, s81                                      // 000000009048: BF0A513C
	s_cselect_b32 s57, s57, 0                                  // 00000000904C: 85398039
	v_mfma_f32_16x16x32_fp8_fp8 v[124:127], a[130:131], a[98:99], v[124:127]// 000000009050: D3F3007C 1DF2C582
	s_add_u32 s60, 0x100, s80                                  // 000000009058: 803C50FF 00000100
	s_cmp_lt_u32 s60, s81                                      // 000000009060: BF0A513C
	s_cselect_b32 s58, s58, 0                                  // 000000009064: 853A803A
	v_mfma_f32_16x16x32_fp8_fp8 v[124:127], a[132:133], a[100:101], v[124:127]// 000000009068: D3F3007C 1DF2C984
	ds_read_b128 a[40:43], v2 offset:2560                      // 000000009070: DBFE0A00 28000002
	ds_read_b128 a[44:47], v2 offset:2624                      // 000000009078: DBFE0A40 2C000002
	s_add_u32 s60, 0x100, s80                                  // 000000009080: 803C50FF 00000100
	s_cmp_lt_u32 s60, s81                                      // 000000009088: BF0A513C
	s_cselect_b32 s83, s83, 0                                  // 00000000908C: 85538053
	v_mfma_f32_16x16x32_fp8_fp8 v[124:127], a[134:135], a[102:103], v[124:127]// 000000009090: D3F3007C 1DF2CD86
	s_add_u32 s24, s58, s24                                    // 000000009098: 8018183A
	s_addc_u32 s25, 0, s25                                     // 00000000909C: 82191980
	v_mfma_f32_16x16x32_fp8_fp8 v[128:131], a[128:129], a[104:105], v[128:131]// 0000000090A0: D3F30080 1E02D180
	s_add_u32 s20, s57, s20                                    // 0000000090A8: 80141439
	s_addc_u32 s21, 0, s21                                     // 0000000090AC: 82151580
	v_mfma_f32_16x16x32_fp8_fp8 v[128:131], a[130:131], a[106:107], v[128:131]// 0000000090B0: D3F30080 1E02D582
	s_add_u32 s84, s83, s84                                    // 0000000090B8: 80545453
	s_addc_u32 s85, 0, s85                                     // 0000000090BC: 82555580
	v_mfma_f32_16x16x32_fp8_fp8 v[128:131], a[132:133], a[108:109], v[128:131]// 0000000090C0: D3F30080 1E02D984
	ds_read_b128 a[48:51], v2 offset:3072                      // 0000000090C8: DBFE0C00 30000002
	ds_read_b128 a[52:55], v2 offset:3136                      // 0000000090D0: DBFE0C40 34000002
	v_mfma_f32_16x16x32_fp8_fp8 v[128:131], a[134:135], a[110:111], v[128:131]// 0000000090D8: D3F30080 1E02DD86
	s_addk_i32 s80, 0x80                                       // 0000000090E0: B7500080
	s_cmp_lt_i32 s80, s81                                      // 0000000090E4: BF045150
	s_cbranch_scc0 label_19BF                                  // 0000000090E8: BF840001
	s_branch label_146C                                        // 0000000090EC: BF82FAAD

00000000000090f0 <label_19BF>:
	v_mul_f32_dpp v76, v24, v76 row_newbcast:0 row_mask:0xf bank_mask:0xf// 0000000090F0: 0A9898FA FF015018
	v_mul_f32_dpp v77, v24, v77 row_newbcast:1 row_mask:0xf bank_mask:0xf// 0000000090F8: 0A9A9AFA FF015118
	v_mul_f32_dpp v78, v24, v78 row_newbcast:2 row_mask:0xf bank_mask:0xf// 000000009100: 0A9C9CFA FF015218
	v_mul_f32_dpp v79, v24, v79 row_newbcast:3 row_mask:0xf bank_mask:0xf// 000000009108: 0A9E9EFA FF015318
	v_mul_f32_dpp v80, v24, v80 row_newbcast:0 row_mask:0xf bank_mask:0xf// 000000009110: 0AA0A0FA FF015018
	v_mul_f32_dpp v81, v24, v81 row_newbcast:1 row_mask:0xf bank_mask:0xf// 000000009118: 0AA2A2FA FF015118
	v_mul_f32_dpp v82, v24, v82 row_newbcast:2 row_mask:0xf bank_mask:0xf// 000000009120: 0AA4A4FA FF015218
	v_mul_f32_dpp v83, v24, v83 row_newbcast:3 row_mask:0xf bank_mask:0xf// 000000009128: 0AA6A6FA FF015318
	v_mul_f32_dpp v84, v24, v84 row_newbcast:0 row_mask:0xf bank_mask:0xf// 000000009130: 0AA8A8FA FF015018
	v_mul_f32_dpp v85, v24, v85 row_newbcast:1 row_mask:0xf bank_mask:0xf// 000000009138: 0AAAAAFA FF015118
	v_mul_f32_dpp v86, v24, v86 row_newbcast:2 row_mask:0xf bank_mask:0xf// 000000009140: 0AACACFA FF015218
	v_mul_f32_dpp v87, v24, v87 row_newbcast:3 row_mask:0xf bank_mask:0xf// 000000009148: 0AAEAEFA FF015318
	v_mul_f32_dpp v88, v24, v88 row_newbcast:0 row_mask:0xf bank_mask:0xf// 000000009150: 0AB0B0FA FF015018
	v_mul_f32_dpp v89, v24, v89 row_newbcast:1 row_mask:0xf bank_mask:0xf// 000000009158: 0AB2B2FA FF015118
	v_mul_f32_dpp v90, v24, v90 row_newbcast:2 row_mask:0xf bank_mask:0xf// 000000009160: 0AB4B4FA FF015218
	v_mul_f32_dpp v91, v24, v91 row_newbcast:3 row_mask:0xf bank_mask:0xf// 000000009168: 0AB6B6FA FF015318
	v_mul_f32_dpp v92, v24, v92 row_newbcast:0 row_mask:0xf bank_mask:0xf// 000000009170: 0AB8B8FA FF015018
	v_mul_f32_dpp v93, v24, v93 row_newbcast:1 row_mask:0xf bank_mask:0xf// 000000009178: 0ABABAFA FF015118
	v_mul_f32_dpp v94, v24, v94 row_newbcast:2 row_mask:0xf bank_mask:0xf// 000000009180: 0ABCBCFA FF015218
	v_mul_f32_dpp v95, v24, v95 row_newbcast:3 row_mask:0xf bank_mask:0xf// 000000009188: 0ABEBEFA FF015318
	v_mul_f32_dpp v96, v24, v96 row_newbcast:0 row_mask:0xf bank_mask:0xf// 000000009190: 0AC0C0FA FF015018
	v_mul_f32_dpp v97, v24, v97 row_newbcast:1 row_mask:0xf bank_mask:0xf// 000000009198: 0AC2C2FA FF015118
	v_mul_f32_dpp v98, v24, v98 row_newbcast:2 row_mask:0xf bank_mask:0xf// 0000000091A0: 0AC4C4FA FF015218
	v_mul_f32_dpp v99, v24, v99 row_newbcast:3 row_mask:0xf bank_mask:0xf// 0000000091A8: 0AC6C6FA FF015318
	v_mul_f32_dpp v100, v24, v100 row_newbcast:0 row_mask:0xf bank_mask:0xf// 0000000091B0: 0AC8C8FA FF015018
	v_mul_f32_dpp v101, v24, v101 row_newbcast:1 row_mask:0xf bank_mask:0xf// 0000000091B8: 0ACACAFA FF015118
	v_mul_f32_dpp v102, v24, v102 row_newbcast:2 row_mask:0xf bank_mask:0xf// 0000000091C0: 0ACCCCFA FF015218
	v_mul_f32_dpp v103, v24, v103 row_newbcast:3 row_mask:0xf bank_mask:0xf// 0000000091C8: 0ACECEFA FF015318
	v_mul_f32_dpp v104, v27, v104 row_newbcast:0 row_mask:0xf bank_mask:0xf// 0000000091D0: 0AD0D0FA FF01501B
	v_mul_f32_dpp v105, v27, v105 row_newbcast:1 row_mask:0xf bank_mask:0xf// 0000000091D8: 0AD2D2FA FF01511B
	v_mul_f32_dpp v106, v27, v106 row_newbcast:2 row_mask:0xf bank_mask:0xf// 0000000091E0: 0AD4D4FA FF01521B
	v_mul_f32_dpp v107, v27, v107 row_newbcast:3 row_mask:0xf bank_mask:0xf// 0000000091E8: 0AD6D6FA FF01531B
	v_mul_f32_dpp v108, v27, v108 row_newbcast:0 row_mask:0xf bank_mask:0xf// 0000000091F0: 0AD8D8FA FF01501B
	v_mul_f32_dpp v109, v27, v109 row_newbcast:1 row_mask:0xf bank_mask:0xf// 0000000091F8: 0ADADAFA FF01511B
	v_mul_f32_dpp v110, v27, v110 row_newbcast:2 row_mask:0xf bank_mask:0xf// 000000009200: 0ADCDCFA FF01521B
	v_mul_f32_dpp v111, v27, v111 row_newbcast:3 row_mask:0xf bank_mask:0xf// 000000009208: 0ADEDEFA FF01531B
	v_mul_f32_dpp v112, v27, v112 row_newbcast:0 row_mask:0xf bank_mask:0xf// 000000009210: 0AE0E0FA FF01501B
	v_mul_f32_dpp v113, v27, v113 row_newbcast:1 row_mask:0xf bank_mask:0xf// 000000009218: 0AE2E2FA FF01511B
	v_mul_f32_dpp v114, v27, v114 row_newbcast:2 row_mask:0xf bank_mask:0xf// 000000009220: 0AE4E4FA FF01521B
	v_mul_f32_dpp v115, v27, v115 row_newbcast:3 row_mask:0xf bank_mask:0xf// 000000009228: 0AE6E6FA FF01531B
	v_mul_f32_dpp v116, v27, v116 row_newbcast:0 row_mask:0xf bank_mask:0xf// 000000009230: 0AE8E8FA FF01501B
	v_mul_f32_dpp v117, v27, v117 row_newbcast:1 row_mask:0xf bank_mask:0xf// 000000009238: 0AEAEAFA FF01511B
	v_mul_f32_dpp v118, v27, v118 row_newbcast:2 row_mask:0xf bank_mask:0xf// 000000009240: 0AECECFA FF01521B
	v_mul_f32_dpp v119, v27, v119 row_newbcast:3 row_mask:0xf bank_mask:0xf// 000000009248: 0AEEEEFA FF01531B
	v_mul_f32_dpp v120, v27, v120 row_newbcast:0 row_mask:0xf bank_mask:0xf// 000000009250: 0AF0F0FA FF01501B
	v_mul_f32_dpp v121, v27, v121 row_newbcast:1 row_mask:0xf bank_mask:0xf// 000000009258: 0AF2F2FA FF01511B
	v_mul_f32_dpp v122, v27, v122 row_newbcast:2 row_mask:0xf bank_mask:0xf// 000000009260: 0AF4F4FA FF01521B
	v_mul_f32_dpp v123, v27, v123 row_newbcast:3 row_mask:0xf bank_mask:0xf// 000000009268: 0AF6F6FA FF01531B
	v_mul_f32_dpp v124, v27, v124 row_newbcast:0 row_mask:0xf bank_mask:0xf// 000000009270: 0AF8F8FA FF01501B
	v_mul_f32_dpp v125, v27, v125 row_newbcast:1 row_mask:0xf bank_mask:0xf// 000000009278: 0AFAFAFA FF01511B
	v_mul_f32_dpp v126, v27, v126 row_newbcast:2 row_mask:0xf bank_mask:0xf// 000000009280: 0AFCFCFA FF01521B
	v_mul_f32_dpp v127, v27, v127 row_newbcast:3 row_mask:0xf bank_mask:0xf// 000000009288: 0AFEFEFA FF01531B
	v_mul_f32_dpp v128, v27, v128 row_newbcast:0 row_mask:0xf bank_mask:0xf// 000000009290: 0B0100FA FF01501B
	v_mul_f32_dpp v129, v27, v129 row_newbcast:1 row_mask:0xf bank_mask:0xf// 000000009298: 0B0302FA FF01511B
	v_mul_f32_dpp v130, v27, v130 row_newbcast:2 row_mask:0xf bank_mask:0xf// 0000000092A0: 0B0504FA FF01521B
	v_mul_f32_dpp v131, v27, v131 row_newbcast:3 row_mask:0xf bank_mask:0xf// 0000000092A8: 0B0706FA FF01531B
	v_mul_f32_e32 v37, v37, v132                               // 0000000092B0: 0A4B0925
	v_mov_b32_e32 v4, v37                                      // 0000000092B4: 7E080325
	v_mov_b32_e32 v5, v4                                       // 0000000092B8: 7E0A0304
	v_pk_mul_f32 v[76:77], v[4:5], v[76:77]                    // 0000000092BC: D3B1404C 18029904
	v_pk_mul_f32 v[104:105], v[4:5], v[104:105]                // 0000000092C4: D3B14068 1802D104
	v_pk_mul_f32 v[78:79], v[4:5], v[78:79]                    // 0000000092CC: D3B1404E 18029D04
	v_pk_mul_f32 v[106:107], v[4:5], v[106:107]                // 0000000092D4: D3B1406A 1802D504
	v_mul_f32_e32 v38, v38, v133                               // 0000000092DC: 0A4D0B26
	v_mov_b32_e32 v4, v38                                      // 0000000092E0: 7E080326
	v_mov_b32_e32 v5, v4                                       // 0000000092E4: 7E0A0304
	v_pk_mul_f32 v[80:81], v[4:5], v[80:81]                    // 0000000092E8: D3B14050 1802A104
	v_pk_mul_f32 v[108:109], v[4:5], v[108:109]                // 0000000092F0: D3B1406C 1802D904
	v_pk_mul_f32 v[82:83], v[4:5], v[82:83]                    // 0000000092F8: D3B14052 1802A504
	v_pk_mul_f32 v[110:111], v[4:5], v[110:111]                // 000000009300: D3B1406E 1802DD04
	v_mul_f32_e32 v39, v39, v134                               // 000000009308: 0A4F0D27
	v_mov_b32_e32 v4, v39                                      // 00000000930C: 7E080327
	v_mov_b32_e32 v5, v4                                       // 000000009310: 7E0A0304
	v_pk_mul_f32 v[84:85], v[4:5], v[84:85]                    // 000000009314: D3B14054 1802A904
	v_pk_mul_f32 v[112:113], v[4:5], v[112:113]                // 00000000931C: D3B14070 1802E104
	v_pk_mul_f32 v[86:87], v[4:5], v[86:87]                    // 000000009324: D3B14056 1802AD04
	v_pk_mul_f32 v[114:115], v[4:5], v[114:115]                // 00000000932C: D3B14072 1802E504
	v_mul_f32_e32 v40, v40, v135                               // 000000009334: 0A510F28
	v_mov_b32_e32 v4, v40                                      // 000000009338: 7E080328
	v_mov_b32_e32 v5, v4                                       // 00000000933C: 7E0A0304
	v_pk_mul_f32 v[88:89], v[4:5], v[88:89]                    // 000000009340: D3B14058 1802B104
	v_pk_mul_f32 v[116:117], v[4:5], v[116:117]                // 000000009348: D3B14074 1802E904
	v_pk_mul_f32 v[90:91], v[4:5], v[90:91]                    // 000000009350: D3B1405A 1802B504
	v_pk_mul_f32 v[118:119], v[4:5], v[118:119]                // 000000009358: D3B14076 1802ED04
	v_mul_f32_e32 v41, v41, v136                               // 000000009360: 0A531129
	v_mov_b32_e32 v4, v41                                      // 000000009364: 7E080329
	v_mov_b32_e32 v5, v4                                       // 000000009368: 7E0A0304
	v_pk_mul_f32 v[92:93], v[4:5], v[92:93]                    // 00000000936C: D3B1405C 1802B904
	v_pk_mul_f32 v[120:121], v[4:5], v[120:121]                // 000000009374: D3B14078 1802F104
	v_pk_mul_f32 v[94:95], v[4:5], v[94:95]                    // 00000000937C: D3B1405E 1802BD04
	v_pk_mul_f32 v[122:123], v[4:5], v[122:123]                // 000000009384: D3B1407A 1802F504
	v_mul_f32_e32 v42, v42, v137                               // 00000000938C: 0A55132A
	v_mov_b32_e32 v4, v42                                      // 000000009390: 7E08032A
	v_mov_b32_e32 v5, v4                                       // 000000009394: 7E0A0304
	v_pk_mul_f32 v[96:97], v[4:5], v[96:97]                    // 000000009398: D3B14060 1802C104
	v_pk_mul_f32 v[124:125], v[4:5], v[124:125]                // 0000000093A0: D3B1407C 1802F904
	v_pk_mul_f32 v[98:99], v[4:5], v[98:99]                    // 0000000093A8: D3B14062 1802C504
	v_pk_mul_f32 v[126:127], v[4:5], v[126:127]                // 0000000093B0: D3B1407E 1802FD04
	v_mul_f32_e32 v43, v43, v138                               // 0000000093B8: 0A57152B
	v_mov_b32_e32 v4, v43                                      // 0000000093BC: 7E08032B
	v_mov_b32_e32 v5, v4                                       // 0000000093C0: 7E0A0304
	v_pk_mul_f32 v[100:101], v[4:5], v[100:101]                // 0000000093C4: D3B14064 1802C904
	v_pk_mul_f32 v[128:129], v[4:5], v[128:129]                // 0000000093CC: D3B14080 18030104
	v_pk_mul_f32 v[102:103], v[4:5], v[102:103]                // 0000000093D4: D3B14066 1802CD04
	v_pk_mul_f32 v[130:131], v[4:5], v[130:131]                // 0000000093DC: D3B14082 18030504
	s_cmp_eq_u32 s88, 0                                        // 0000000093E4: BF068058
	s_cbranch_scc0 label_1FB5                                  // 0000000093E8: BF840537
	s_cmp_eq_u32 s89, 0                                        // 0000000093EC: BF068059
	s_cbranch_scc1 label_1B9D                                  // 0000000093F0: BF85011D
	v_mov_b32_e32 v8, v1                                       // 0000000093F4: 7E100301
	v_mov_b32_e32 v9, v1                                       // 0000000093F8: 7E120301
	s_mov_b32 s60, s6                                          // 0000000093FC: BEBC0006
	s_mov_b32 s61, s6                                          // 000000009400: BEBD0006
	v_pk_mul_f32 v[4:5], v[76:77], v[76:77]                    // 000000009404: D3B14004 1802994C
	v_pk_mul_f32 v[6:7], v[78:79], v[78:79]                    // 00000000940C: D3B14006 18029D4E
	v_pk_fma_f32 v[4:5], v[4:5], s[78:79], v[8:9]              // 000000009414: D3B04004 1C209D04
	v_pk_fma_f32 v[6:7], v[6:7], s[78:79], v[8:9]              // 00000000941C: D3B04006 1C209D06
	v_pk_mul_f32 v[4:5], v[4:5], v[76:77]                      // 000000009424: D3B14004 18029904
	v_pk_mul_f32 v[6:7], v[6:7], v[78:79]                      // 00000000942C: D3B14006 18029D06
	v_pk_mul_f32 v[4:5], v[4:5], s[60:61]                      // 000000009434: D3B14004 18007904
	v_pk_mul_f32 v[6:7], v[6:7], s[60:61]                      // 00000000943C: D3B14006 18007906
	v_exp_f32_e32 v4, v4                                       // 000000009444: 7E084104
	v_exp_f32_e32 v5, v5                                       // 000000009448: 7E0A4105
	v_exp_f32_e32 v6, v6                                       // 00000000944C: 7E0C4106
	v_exp_f32_e32 v7, v7                                       // 000000009450: 7E0E4107
	v_add_f32_e64 v4, v4, 1.0                                  // 000000009454: D1010004 0001E504
	v_add_f32_e64 v5, v5, 1.0                                  // 00000000945C: D1010005 0001E505
	v_add_f32_e64 v6, v6, 1.0                                  // 000000009464: D1010006 0001E506
	v_add_f32_e64 v7, v7, 1.0                                  // 00000000946C: D1010007 0001E507
	v_rcp_f32_e32 v4, v4                                       // 000000009474: 7E084504
	v_rcp_f32_e32 v5, v5                                       // 000000009478: 7E0A4505
	v_rcp_f32_e32 v6, v6                                       // 00000000947C: 7E0C4506
	v_rcp_f32_e32 v7, v7                                       // 000000009480: 7E0E4507
	v_mul_f32_e32 v76, v76, v4                                 // 000000009484: 0A98094C
	v_mul_f32_e32 v77, v77, v5                                 // 000000009488: 0A9A0B4D
	v_mul_f32_e32 v78, v78, v6                                 // 00000000948C: 0A9C0D4E
	v_mul_f32_e32 v79, v79, v7                                 // 000000009490: 0A9E0F4F
	v_mul_f32_e32 v76, v76, v104                               // 000000009494: 0A98D14C
	v_mul_f32_e32 v77, v77, v105                               // 000000009498: 0A9AD34D
	v_mul_f32_e32 v78, v78, v106                               // 00000000949C: 0A9CD54E
	v_mul_f32_e32 v79, v79, v107                               // 0000000094A0: 0A9ED74F
	v_pk_mul_f32 v[4:5], v[80:81], v[80:81]                    // 0000000094A4: D3B14004 1802A150
	v_pk_mul_f32 v[6:7], v[82:83], v[82:83]                    // 0000000094AC: D3B14006 1802A552
	v_pk_fma_f32 v[4:5], v[4:5], s[78:79], v[8:9]              // 0000000094B4: D3B04004 1C209D04
	v_pk_fma_f32 v[6:7], v[6:7], s[78:79], v[8:9]              // 0000000094BC: D3B04006 1C209D06
	v_pk_mul_f32 v[4:5], v[4:5], v[80:81]                      // 0000000094C4: D3B14004 1802A104
	v_pk_mul_f32 v[6:7], v[6:7], v[82:83]                      // 0000000094CC: D3B14006 1802A506
	v_pk_mul_f32 v[4:5], v[4:5], s[60:61]                      // 0000000094D4: D3B14004 18007904
	v_pk_mul_f32 v[6:7], v[6:7], s[60:61]                      // 0000000094DC: D3B14006 18007906
	v_exp_f32_e32 v4, v4                                       // 0000000094E4: 7E084104
	v_exp_f32_e32 v5, v5                                       // 0000000094E8: 7E0A4105
	v_exp_f32_e32 v6, v6                                       // 0000000094EC: 7E0C4106
	v_exp_f32_e32 v7, v7                                       // 0000000094F0: 7E0E4107
	v_add_f32_e64 v4, v4, 1.0                                  // 0000000094F4: D1010004 0001E504
	v_add_f32_e64 v5, v5, 1.0                                  // 0000000094FC: D1010005 0001E505
	v_add_f32_e64 v6, v6, 1.0                                  // 000000009504: D1010006 0001E506
	v_add_f32_e64 v7, v7, 1.0                                  // 00000000950C: D1010007 0001E507
	v_rcp_f32_e32 v4, v4                                       // 000000009514: 7E084504
	v_rcp_f32_e32 v5, v5                                       // 000000009518: 7E0A4505
	v_rcp_f32_e32 v6, v6                                       // 00000000951C: 7E0C4506
	v_rcp_f32_e32 v7, v7                                       // 000000009520: 7E0E4507
	v_mul_f32_e32 v80, v80, v4                                 // 000000009524: 0AA00950
	v_mul_f32_e32 v81, v81, v5                                 // 000000009528: 0AA20B51
	v_mul_f32_e32 v82, v82, v6                                 // 00000000952C: 0AA40D52
	v_mul_f32_e32 v83, v83, v7                                 // 000000009530: 0AA60F53
	v_mul_f32_e32 v80, v80, v108                               // 000000009534: 0AA0D950
	v_mul_f32_e32 v81, v81, v109                               // 000000009538: 0AA2DB51
	v_mul_f32_e32 v82, v82, v110                               // 00000000953C: 0AA4DD52
	v_mul_f32_e32 v83, v83, v111                               // 000000009540: 0AA6DF53
	v_pk_mul_f32 v[4:5], v[84:85], v[84:85]                    // 000000009544: D3B14004 1802A954
	v_pk_mul_f32 v[6:7], v[86:87], v[86:87]                    // 00000000954C: D3B14006 1802AD56
	v_pk_fma_f32 v[4:5], v[4:5], s[78:79], v[8:9]              // 000000009554: D3B04004 1C209D04
	v_pk_fma_f32 v[6:7], v[6:7], s[78:79], v[8:9]              // 00000000955C: D3B04006 1C209D06
	v_pk_mul_f32 v[4:5], v[4:5], v[84:85]                      // 000000009564: D3B14004 1802A904
	v_pk_mul_f32 v[6:7], v[6:7], v[86:87]                      // 00000000956C: D3B14006 1802AD06
	v_pk_mul_f32 v[4:5], v[4:5], s[60:61]                      // 000000009574: D3B14004 18007904
	v_pk_mul_f32 v[6:7], v[6:7], s[60:61]                      // 00000000957C: D3B14006 18007906
	v_exp_f32_e32 v4, v4                                       // 000000009584: 7E084104
	v_exp_f32_e32 v5, v5                                       // 000000009588: 7E0A4105
	v_exp_f32_e32 v6, v6                                       // 00000000958C: 7E0C4106
	v_exp_f32_e32 v7, v7                                       // 000000009590: 7E0E4107
	v_add_f32_e64 v4, v4, 1.0                                  // 000000009594: D1010004 0001E504
	v_add_f32_e64 v5, v5, 1.0                                  // 00000000959C: D1010005 0001E505
	v_add_f32_e64 v6, v6, 1.0                                  // 0000000095A4: D1010006 0001E506
	v_add_f32_e64 v7, v7, 1.0                                  // 0000000095AC: D1010007 0001E507
	v_rcp_f32_e32 v4, v4                                       // 0000000095B4: 7E084504
	v_rcp_f32_e32 v5, v5                                       // 0000000095B8: 7E0A4505
	v_rcp_f32_e32 v6, v6                                       // 0000000095BC: 7E0C4506
	v_rcp_f32_e32 v7, v7                                       // 0000000095C0: 7E0E4507
	v_mul_f32_e32 v84, v84, v4                                 // 0000000095C4: 0AA80954
	v_mul_f32_e32 v85, v85, v5                                 // 0000000095C8: 0AAA0B55
	v_mul_f32_e32 v86, v86, v6                                 // 0000000095CC: 0AAC0D56
	v_mul_f32_e32 v87, v87, v7                                 // 0000000095D0: 0AAE0F57
	v_mul_f32_e32 v84, v84, v112                               // 0000000095D4: 0AA8E154
	v_mul_f32_e32 v85, v85, v113                               // 0000000095D8: 0AAAE355
	v_mul_f32_e32 v86, v86, v114                               // 0000000095DC: 0AACE556
	v_mul_f32_e32 v87, v87, v115                               // 0000000095E0: 0AAEE757
	v_pk_mul_f32 v[4:5], v[88:89], v[88:89]                    // 0000000095E4: D3B14004 1802B158
	v_pk_mul_f32 v[6:7], v[90:91], v[90:91]                    // 0000000095EC: D3B14006 1802B55A
	v_pk_fma_f32 v[4:5], v[4:5], s[78:79], v[8:9]              // 0000000095F4: D3B04004 1C209D04
	v_pk_fma_f32 v[6:7], v[6:7], s[78:79], v[8:9]              // 0000000095FC: D3B04006 1C209D06
	v_pk_mul_f32 v[4:5], v[4:5], v[88:89]                      // 000000009604: D3B14004 1802B104
	v_pk_mul_f32 v[6:7], v[6:7], v[90:91]                      // 00000000960C: D3B14006 1802B506
	v_pk_mul_f32 v[4:5], v[4:5], s[60:61]                      // 000000009614: D3B14004 18007904
	v_pk_mul_f32 v[6:7], v[6:7], s[60:61]                      // 00000000961C: D3B14006 18007906
	v_exp_f32_e32 v4, v4                                       // 000000009624: 7E084104
	v_exp_f32_e32 v5, v5                                       // 000000009628: 7E0A4105
	v_exp_f32_e32 v6, v6                                       // 00000000962C: 7E0C4106
	v_exp_f32_e32 v7, v7                                       // 000000009630: 7E0E4107
	v_add_f32_e64 v4, v4, 1.0                                  // 000000009634: D1010004 0001E504
	v_add_f32_e64 v5, v5, 1.0                                  // 00000000963C: D1010005 0001E505
	v_add_f32_e64 v6, v6, 1.0                                  // 000000009644: D1010006 0001E506
	v_add_f32_e64 v7, v7, 1.0                                  // 00000000964C: D1010007 0001E507
	v_rcp_f32_e32 v4, v4                                       // 000000009654: 7E084504
	v_rcp_f32_e32 v5, v5                                       // 000000009658: 7E0A4505
	v_rcp_f32_e32 v6, v6                                       // 00000000965C: 7E0C4506
	v_rcp_f32_e32 v7, v7                                       // 000000009660: 7E0E4507
	v_mul_f32_e32 v88, v88, v4                                 // 000000009664: 0AB00958
	v_mul_f32_e32 v89, v89, v5                                 // 000000009668: 0AB20B59
	v_mul_f32_e32 v90, v90, v6                                 // 00000000966C: 0AB40D5A
	v_mul_f32_e32 v91, v91, v7                                 // 000000009670: 0AB60F5B
	v_mul_f32_e32 v88, v88, v116                               // 000000009674: 0AB0E958
	v_mul_f32_e32 v89, v89, v117                               // 000000009678: 0AB2EB59
	v_mul_f32_e32 v90, v90, v118                               // 00000000967C: 0AB4ED5A
	v_mul_f32_e32 v91, v91, v119                               // 000000009680: 0AB6EF5B
	v_pk_mul_f32 v[4:5], v[92:93], v[92:93]                    // 000000009684: D3B14004 1802B95C
	v_pk_mul_f32 v[6:7], v[94:95], v[94:95]                    // 00000000968C: D3B14006 1802BD5E
	v_pk_fma_f32 v[4:5], v[4:5], s[78:79], v[8:9]              // 000000009694: D3B04004 1C209D04
	v_pk_fma_f32 v[6:7], v[6:7], s[78:79], v[8:9]              // 00000000969C: D3B04006 1C209D06
	v_pk_mul_f32 v[4:5], v[4:5], v[92:93]                      // 0000000096A4: D3B14004 1802B904
	v_pk_mul_f32 v[6:7], v[6:7], v[94:95]                      // 0000000096AC: D3B14006 1802BD06
	v_pk_mul_f32 v[4:5], v[4:5], s[60:61]                      // 0000000096B4: D3B14004 18007904
	v_pk_mul_f32 v[6:7], v[6:7], s[60:61]                      // 0000000096BC: D3B14006 18007906
	v_exp_f32_e32 v4, v4                                       // 0000000096C4: 7E084104
	v_exp_f32_e32 v5, v5                                       // 0000000096C8: 7E0A4105
	v_exp_f32_e32 v6, v6                                       // 0000000096CC: 7E0C4106
	v_exp_f32_e32 v7, v7                                       // 0000000096D0: 7E0E4107
	v_add_f32_e64 v4, v4, 1.0                                  // 0000000096D4: D1010004 0001E504
	v_add_f32_e64 v5, v5, 1.0                                  // 0000000096DC: D1010005 0001E505
	v_add_f32_e64 v6, v6, 1.0                                  // 0000000096E4: D1010006 0001E506
	v_add_f32_e64 v7, v7, 1.0                                  // 0000000096EC: D1010007 0001E507
	v_rcp_f32_e32 v4, v4                                       // 0000000096F4: 7E084504
	v_rcp_f32_e32 v5, v5                                       // 0000000096F8: 7E0A4505
	v_rcp_f32_e32 v6, v6                                       // 0000000096FC: 7E0C4506
	v_rcp_f32_e32 v7, v7                                       // 000000009700: 7E0E4507
	v_mul_f32_e32 v92, v92, v4                                 // 000000009704: 0AB8095C
	v_mul_f32_e32 v93, v93, v5                                 // 000000009708: 0ABA0B5D
	v_mul_f32_e32 v94, v94, v6                                 // 00000000970C: 0ABC0D5E
	v_mul_f32_e32 v95, v95, v7                                 // 000000009710: 0ABE0F5F
	v_mul_f32_e32 v92, v92, v120                               // 000000009714: 0AB8F15C
	v_mul_f32_e32 v93, v93, v121                               // 000000009718: 0ABAF35D
	v_mul_f32_e32 v94, v94, v122                               // 00000000971C: 0ABCF55E
	v_mul_f32_e32 v95, v95, v123                               // 000000009720: 0ABEF75F
	v_pk_mul_f32 v[4:5], v[96:97], v[96:97]                    // 000000009724: D3B14004 1802C160
	v_pk_mul_f32 v[6:7], v[98:99], v[98:99]                    // 00000000972C: D3B14006 1802C562
	v_pk_fma_f32 v[4:5], v[4:5], s[78:79], v[8:9]              // 000000009734: D3B04004 1C209D04
	v_pk_fma_f32 v[6:7], v[6:7], s[78:79], v[8:9]              // 00000000973C: D3B04006 1C209D06
	v_pk_mul_f32 v[4:5], v[4:5], v[96:97]                      // 000000009744: D3B14004 1802C104
	v_pk_mul_f32 v[6:7], v[6:7], v[98:99]                      // 00000000974C: D3B14006 1802C506
	v_pk_mul_f32 v[4:5], v[4:5], s[60:61]                      // 000000009754: D3B14004 18007904
	v_pk_mul_f32 v[6:7], v[6:7], s[60:61]                      // 00000000975C: D3B14006 18007906
	v_exp_f32_e32 v4, v4                                       // 000000009764: 7E084104
	v_exp_f32_e32 v5, v5                                       // 000000009768: 7E0A4105
	v_exp_f32_e32 v6, v6                                       // 00000000976C: 7E0C4106
	v_exp_f32_e32 v7, v7                                       // 000000009770: 7E0E4107
	v_add_f32_e64 v4, v4, 1.0                                  // 000000009774: D1010004 0001E504
	v_add_f32_e64 v5, v5, 1.0                                  // 00000000977C: D1010005 0001E505
	v_add_f32_e64 v6, v6, 1.0                                  // 000000009784: D1010006 0001E506
	v_add_f32_e64 v7, v7, 1.0                                  // 00000000978C: D1010007 0001E507
	v_rcp_f32_e32 v4, v4                                       // 000000009794: 7E084504
	v_rcp_f32_e32 v5, v5                                       // 000000009798: 7E0A4505
	v_rcp_f32_e32 v6, v6                                       // 00000000979C: 7E0C4506
	v_rcp_f32_e32 v7, v7                                       // 0000000097A0: 7E0E4507
	v_mul_f32_e32 v96, v96, v4                                 // 0000000097A4: 0AC00960
	v_mul_f32_e32 v97, v97, v5                                 // 0000000097A8: 0AC20B61
	v_mul_f32_e32 v98, v98, v6                                 // 0000000097AC: 0AC40D62
	v_mul_f32_e32 v99, v99, v7                                 // 0000000097B0: 0AC60F63
	v_mul_f32_e32 v96, v96, v124                               // 0000000097B4: 0AC0F960
	v_mul_f32_e32 v97, v97, v125                               // 0000000097B8: 0AC2FB61
	v_mul_f32_e32 v98, v98, v126                               // 0000000097BC: 0AC4FD62
	v_mul_f32_e32 v99, v99, v127                               // 0000000097C0: 0AC6FF63
	v_pk_mul_f32 v[4:5], v[100:101], v[100:101]                // 0000000097C4: D3B14004 1802C964
	v_pk_mul_f32 v[6:7], v[102:103], v[102:103]                // 0000000097CC: D3B14006 1802CD66
	v_pk_fma_f32 v[4:5], v[4:5], s[78:79], v[8:9]              // 0000000097D4: D3B04004 1C209D04
	v_pk_fma_f32 v[6:7], v[6:7], s[78:79], v[8:9]              // 0000000097DC: D3B04006 1C209D06
	v_pk_mul_f32 v[4:5], v[4:5], v[100:101]                    // 0000000097E4: D3B14004 1802C904
	v_pk_mul_f32 v[6:7], v[6:7], v[102:103]                    // 0000000097EC: D3B14006 1802CD06
	v_pk_mul_f32 v[4:5], v[4:5], s[60:61]                      // 0000000097F4: D3B14004 18007904
	v_pk_mul_f32 v[6:7], v[6:7], s[60:61]                      // 0000000097FC: D3B14006 18007906
	v_exp_f32_e32 v4, v4                                       // 000000009804: 7E084104
	v_exp_f32_e32 v5, v5                                       // 000000009808: 7E0A4105
	v_exp_f32_e32 v6, v6                                       // 00000000980C: 7E0C4106
	v_exp_f32_e32 v7, v7                                       // 000000009810: 7E0E4107
	v_add_f32_e64 v4, v4, 1.0                                  // 000000009814: D1010004 0001E504
	v_add_f32_e64 v5, v5, 1.0                                  // 00000000981C: D1010005 0001E505
	v_add_f32_e64 v6, v6, 1.0                                  // 000000009824: D1010006 0001E506
	v_add_f32_e64 v7, v7, 1.0                                  // 00000000982C: D1010007 0001E507
	v_rcp_f32_e32 v4, v4                                       // 000000009834: 7E084504
	v_rcp_f32_e32 v5, v5                                       // 000000009838: 7E0A4505
	v_rcp_f32_e32 v6, v6                                       // 00000000983C: 7E0C4506
	v_rcp_f32_e32 v7, v7                                       // 000000009840: 7E0E4507
	v_mul_f32_e32 v100, v100, v4                               // 000000009844: 0AC80964
	v_mul_f32_e32 v101, v101, v5                               // 000000009848: 0ACA0B65
	v_mul_f32_e32 v102, v102, v6                               // 00000000984C: 0ACC0D66
	v_mul_f32_e32 v103, v103, v7                               // 000000009850: 0ACE0F67
	v_mul_f32_e32 v100, v100, v128                             // 000000009854: 0AC90164
	v_mul_f32_e32 v101, v101, v129                             // 000000009858: 0ACB0365
	v_mul_f32_e32 v102, v102, v130                             // 00000000985C: 0ACD0566
	v_mul_f32_e32 v103, v103, v131                             // 000000009860: 0ACF0767
	s_branch label_1C7D                                        // 000000009864: BF8200E0

0000000000009868 <label_1B9D>:
	v_mul_f32_e64 v4, -v76, s6                                 // 000000009868: D1050004 20000D4C
	v_mul_f32_e64 v5, -v77, s6                                 // 000000009870: D1050005 20000D4D
	v_mul_f32_e64 v6, -v78, s6                                 // 000000009878: D1050006 20000D4E
	v_mul_f32_e64 v7, -v79, s6                                 // 000000009880: D1050007 20000D4F
	v_exp_f32_e32 v4, v4                                       // 000000009888: 7E084104
	v_exp_f32_e32 v5, v5                                       // 00000000988C: 7E0A4105
	v_exp_f32_e32 v6, v6                                       // 000000009890: 7E0C4106
	v_exp_f32_e32 v7, v7                                       // 000000009894: 7E0E4107
	v_add_f32_e64 v4, v4, 1.0                                  // 000000009898: D1010004 0001E504
	v_add_f32_e64 v5, v5, 1.0                                  // 0000000098A0: D1010005 0001E505
	v_add_f32_e64 v6, v6, 1.0                                  // 0000000098A8: D1010006 0001E506
	v_add_f32_e64 v7, v7, 1.0                                  // 0000000098B0: D1010007 0001E507
	v_rcp_f32_e32 v4, v4                                       // 0000000098B8: 7E084504
	v_rcp_f32_e32 v5, v5                                       // 0000000098BC: 7E0A4505
	v_rcp_f32_e32 v6, v6                                       // 0000000098C0: 7E0C4506
	v_rcp_f32_e32 v7, v7                                       // 0000000098C4: 7E0E4507
	v_mul_f32_e32 v76, v76, v4                                 // 0000000098C8: 0A98094C
	v_mul_f32_e32 v77, v77, v5                                 // 0000000098CC: 0A9A0B4D
	v_mul_f32_e32 v78, v78, v6                                 // 0000000098D0: 0A9C0D4E
	v_mul_f32_e32 v79, v79, v7                                 // 0000000098D4: 0A9E0F4F
	v_mul_f32_e32 v76, v76, v104                               // 0000000098D8: 0A98D14C
	v_mul_f32_e32 v77, v77, v105                               // 0000000098DC: 0A9AD34D
	v_mul_f32_e32 v78, v78, v106                               // 0000000098E0: 0A9CD54E
	v_mul_f32_e32 v79, v79, v107                               // 0000000098E4: 0A9ED74F
	v_mul_f32_e64 v4, -v80, s6                                 // 0000000098E8: D1050004 20000D50
	v_mul_f32_e64 v5, -v81, s6                                 // 0000000098F0: D1050005 20000D51
	v_mul_f32_e64 v6, -v82, s6                                 // 0000000098F8: D1050006 20000D52
	v_mul_f32_e64 v7, -v83, s6                                 // 000000009900: D1050007 20000D53
	v_exp_f32_e32 v4, v4                                       // 000000009908: 7E084104
	v_exp_f32_e32 v5, v5                                       // 00000000990C: 7E0A4105
	v_exp_f32_e32 v6, v6                                       // 000000009910: 7E0C4106
	v_exp_f32_e32 v7, v7                                       // 000000009914: 7E0E4107
	v_add_f32_e64 v4, v4, 1.0                                  // 000000009918: D1010004 0001E504
	v_add_f32_e64 v5, v5, 1.0                                  // 000000009920: D1010005 0001E505
	v_add_f32_e64 v6, v6, 1.0                                  // 000000009928: D1010006 0001E506
	v_add_f32_e64 v7, v7, 1.0                                  // 000000009930: D1010007 0001E507
	v_rcp_f32_e32 v4, v4                                       // 000000009938: 7E084504
	v_rcp_f32_e32 v5, v5                                       // 00000000993C: 7E0A4505
	v_rcp_f32_e32 v6, v6                                       // 000000009940: 7E0C4506
	v_rcp_f32_e32 v7, v7                                       // 000000009944: 7E0E4507
	v_mul_f32_e32 v80, v80, v4                                 // 000000009948: 0AA00950
	v_mul_f32_e32 v81, v81, v5                                 // 00000000994C: 0AA20B51
	v_mul_f32_e32 v82, v82, v6                                 // 000000009950: 0AA40D52
	v_mul_f32_e32 v83, v83, v7                                 // 000000009954: 0AA60F53
	v_mul_f32_e32 v80, v80, v108                               // 000000009958: 0AA0D950
	v_mul_f32_e32 v81, v81, v109                               // 00000000995C: 0AA2DB51
	v_mul_f32_e32 v82, v82, v110                               // 000000009960: 0AA4DD52
	v_mul_f32_e32 v83, v83, v111                               // 000000009964: 0AA6DF53
	v_mul_f32_e64 v4, -v84, s6                                 // 000000009968: D1050004 20000D54
	v_mul_f32_e64 v5, -v85, s6                                 // 000000009970: D1050005 20000D55
	v_mul_f32_e64 v6, -v86, s6                                 // 000000009978: D1050006 20000D56
	v_mul_f32_e64 v7, -v87, s6                                 // 000000009980: D1050007 20000D57
	v_exp_f32_e32 v4, v4                                       // 000000009988: 7E084104
	v_exp_f32_e32 v5, v5                                       // 00000000998C: 7E0A4105
	v_exp_f32_e32 v6, v6                                       // 000000009990: 7E0C4106
	v_exp_f32_e32 v7, v7                                       // 000000009994: 7E0E4107
	v_add_f32_e64 v4, v4, 1.0                                  // 000000009998: D1010004 0001E504
	v_add_f32_e64 v5, v5, 1.0                                  // 0000000099A0: D1010005 0001E505
	v_add_f32_e64 v6, v6, 1.0                                  // 0000000099A8: D1010006 0001E506
	v_add_f32_e64 v7, v7, 1.0                                  // 0000000099B0: D1010007 0001E507
	v_rcp_f32_e32 v4, v4                                       // 0000000099B8: 7E084504
	v_rcp_f32_e32 v5, v5                                       // 0000000099BC: 7E0A4505
	v_rcp_f32_e32 v6, v6                                       // 0000000099C0: 7E0C4506
	v_rcp_f32_e32 v7, v7                                       // 0000000099C4: 7E0E4507
	v_mul_f32_e32 v84, v84, v4                                 // 0000000099C8: 0AA80954
	v_mul_f32_e32 v85, v85, v5                                 // 0000000099CC: 0AAA0B55
	v_mul_f32_e32 v86, v86, v6                                 // 0000000099D0: 0AAC0D56
	v_mul_f32_e32 v87, v87, v7                                 // 0000000099D4: 0AAE0F57
	v_mul_f32_e32 v84, v84, v112                               // 0000000099D8: 0AA8E154
	v_mul_f32_e32 v85, v85, v113                               // 0000000099DC: 0AAAE355
	v_mul_f32_e32 v86, v86, v114                               // 0000000099E0: 0AACE556
	v_mul_f32_e32 v87, v87, v115                               // 0000000099E4: 0AAEE757
	v_mul_f32_e64 v4, -v88, s6                                 // 0000000099E8: D1050004 20000D58
	v_mul_f32_e64 v5, -v89, s6                                 // 0000000099F0: D1050005 20000D59
	v_mul_f32_e64 v6, -v90, s6                                 // 0000000099F8: D1050006 20000D5A
	v_mul_f32_e64 v7, -v91, s6                                 // 000000009A00: D1050007 20000D5B
	v_exp_f32_e32 v4, v4                                       // 000000009A08: 7E084104
	v_exp_f32_e32 v5, v5                                       // 000000009A0C: 7E0A4105
	v_exp_f32_e32 v6, v6                                       // 000000009A10: 7E0C4106
	v_exp_f32_e32 v7, v7                                       // 000000009A14: 7E0E4107
	v_add_f32_e64 v4, v4, 1.0                                  // 000000009A18: D1010004 0001E504
	v_add_f32_e64 v5, v5, 1.0                                  // 000000009A20: D1010005 0001E505
	v_add_f32_e64 v6, v6, 1.0                                  // 000000009A28: D1010006 0001E506
	v_add_f32_e64 v7, v7, 1.0                                  // 000000009A30: D1010007 0001E507
	v_rcp_f32_e32 v4, v4                                       // 000000009A38: 7E084504
	v_rcp_f32_e32 v5, v5                                       // 000000009A3C: 7E0A4505
	v_rcp_f32_e32 v6, v6                                       // 000000009A40: 7E0C4506
	v_rcp_f32_e32 v7, v7                                       // 000000009A44: 7E0E4507
	v_mul_f32_e32 v88, v88, v4                                 // 000000009A48: 0AB00958
	v_mul_f32_e32 v89, v89, v5                                 // 000000009A4C: 0AB20B59
	v_mul_f32_e32 v90, v90, v6                                 // 000000009A50: 0AB40D5A
	v_mul_f32_e32 v91, v91, v7                                 // 000000009A54: 0AB60F5B
	v_mul_f32_e32 v88, v88, v116                               // 000000009A58: 0AB0E958
	v_mul_f32_e32 v89, v89, v117                               // 000000009A5C: 0AB2EB59
	v_mul_f32_e32 v90, v90, v118                               // 000000009A60: 0AB4ED5A
	v_mul_f32_e32 v91, v91, v119                               // 000000009A64: 0AB6EF5B
	v_mul_f32_e64 v4, -v92, s6                                 // 000000009A68: D1050004 20000D5C
	v_mul_f32_e64 v5, -v93, s6                                 // 000000009A70: D1050005 20000D5D
	v_mul_f32_e64 v6, -v94, s6                                 // 000000009A78: D1050006 20000D5E
	v_mul_f32_e64 v7, -v95, s6                                 // 000000009A80: D1050007 20000D5F
	v_exp_f32_e32 v4, v4                                       // 000000009A88: 7E084104
	v_exp_f32_e32 v5, v5                                       // 000000009A8C: 7E0A4105
	v_exp_f32_e32 v6, v6                                       // 000000009A90: 7E0C4106
	v_exp_f32_e32 v7, v7                                       // 000000009A94: 7E0E4107
	v_add_f32_e64 v4, v4, 1.0                                  // 000000009A98: D1010004 0001E504
	v_add_f32_e64 v5, v5, 1.0                                  // 000000009AA0: D1010005 0001E505
	v_add_f32_e64 v6, v6, 1.0                                  // 000000009AA8: D1010006 0001E506
	v_add_f32_e64 v7, v7, 1.0                                  // 000000009AB0: D1010007 0001E507
	v_rcp_f32_e32 v4, v4                                       // 000000009AB8: 7E084504
	v_rcp_f32_e32 v5, v5                                       // 000000009ABC: 7E0A4505
	v_rcp_f32_e32 v6, v6                                       // 000000009AC0: 7E0C4506
	v_rcp_f32_e32 v7, v7                                       // 000000009AC4: 7E0E4507
	v_mul_f32_e32 v92, v92, v4                                 // 000000009AC8: 0AB8095C
	v_mul_f32_e32 v93, v93, v5                                 // 000000009ACC: 0ABA0B5D
	v_mul_f32_e32 v94, v94, v6                                 // 000000009AD0: 0ABC0D5E
	v_mul_f32_e32 v95, v95, v7                                 // 000000009AD4: 0ABE0F5F
	v_mul_f32_e32 v92, v92, v120                               // 000000009AD8: 0AB8F15C
	v_mul_f32_e32 v93, v93, v121                               // 000000009ADC: 0ABAF35D
	v_mul_f32_e32 v94, v94, v122                               // 000000009AE0: 0ABCF55E
	v_mul_f32_e32 v95, v95, v123                               // 000000009AE4: 0ABEF75F
	v_mul_f32_e64 v4, -v96, s6                                 // 000000009AE8: D1050004 20000D60
	v_mul_f32_e64 v5, -v97, s6                                 // 000000009AF0: D1050005 20000D61
	v_mul_f32_e64 v6, -v98, s6                                 // 000000009AF8: D1050006 20000D62
	v_mul_f32_e64 v7, -v99, s6                                 // 000000009B00: D1050007 20000D63
	v_exp_f32_e32 v4, v4                                       // 000000009B08: 7E084104
	v_exp_f32_e32 v5, v5                                       // 000000009B0C: 7E0A4105
	v_exp_f32_e32 v6, v6                                       // 000000009B10: 7E0C4106
	v_exp_f32_e32 v7, v7                                       // 000000009B14: 7E0E4107
	v_add_f32_e64 v4, v4, 1.0                                  // 000000009B18: D1010004 0001E504
	v_add_f32_e64 v5, v5, 1.0                                  // 000000009B20: D1010005 0001E505
	v_add_f32_e64 v6, v6, 1.0                                  // 000000009B28: D1010006 0001E506
	v_add_f32_e64 v7, v7, 1.0                                  // 000000009B30: D1010007 0001E507
	v_rcp_f32_e32 v4, v4                                       // 000000009B38: 7E084504
	v_rcp_f32_e32 v5, v5                                       // 000000009B3C: 7E0A4505
	v_rcp_f32_e32 v6, v6                                       // 000000009B40: 7E0C4506
	v_rcp_f32_e32 v7, v7                                       // 000000009B44: 7E0E4507
	v_mul_f32_e32 v96, v96, v4                                 // 000000009B48: 0AC00960
	v_mul_f32_e32 v97, v97, v5                                 // 000000009B4C: 0AC20B61
	v_mul_f32_e32 v98, v98, v6                                 // 000000009B50: 0AC40D62
	v_mul_f32_e32 v99, v99, v7                                 // 000000009B54: 0AC60F63
	v_mul_f32_e32 v96, v96, v124                               // 000000009B58: 0AC0F960
	v_mul_f32_e32 v97, v97, v125                               // 000000009B5C: 0AC2FB61
	v_mul_f32_e32 v98, v98, v126                               // 000000009B60: 0AC4FD62
	v_mul_f32_e32 v99, v99, v127                               // 000000009B64: 0AC6FF63
	v_mul_f32_e64 v4, -v100, s6                                // 000000009B68: D1050004 20000D64
	v_mul_f32_e64 v5, -v101, s6                                // 000000009B70: D1050005 20000D65
	v_mul_f32_e64 v6, -v102, s6                                // 000000009B78: D1050006 20000D66
	v_mul_f32_e64 v7, -v103, s6                                // 000000009B80: D1050007 20000D67
	v_exp_f32_e32 v4, v4                                       // 000000009B88: 7E084104
	v_exp_f32_e32 v5, v5                                       // 000000009B8C: 7E0A4105
	v_exp_f32_e32 v6, v6                                       // 000000009B90: 7E0C4106
	v_exp_f32_e32 v7, v7                                       // 000000009B94: 7E0E4107
	v_add_f32_e64 v4, v4, 1.0                                  // 000000009B98: D1010004 0001E504
	v_add_f32_e64 v5, v5, 1.0                                  // 000000009BA0: D1010005 0001E505
	v_add_f32_e64 v6, v6, 1.0                                  // 000000009BA8: D1010006 0001E506
	v_add_f32_e64 v7, v7, 1.0                                  // 000000009BB0: D1010007 0001E507
	v_rcp_f32_e32 v4, v4                                       // 000000009BB8: 7E084504
	v_rcp_f32_e32 v5, v5                                       // 000000009BBC: 7E0A4505
	v_rcp_f32_e32 v6, v6                                       // 000000009BC0: 7E0C4506
	v_rcp_f32_e32 v7, v7                                       // 000000009BC4: 7E0E4507
	v_mul_f32_e32 v100, v100, v4                               // 000000009BC8: 0AC80964
	v_mul_f32_e32 v101, v101, v5                               // 000000009BCC: 0ACA0B65
	v_mul_f32_e32 v102, v102, v6                               // 000000009BD0: 0ACC0D66
	v_mul_f32_e32 v103, v103, v7                               // 000000009BD4: 0ACE0F67
	v_mul_f32_e32 v100, v100, v128                             // 000000009BD8: 0AC90164
	v_mul_f32_e32 v101, v101, v129                             // 000000009BDC: 0ACB0365
	v_mul_f32_e32 v102, v102, v130                             // 000000009BE0: 0ACD0566
	v_mul_f32_e32 v103, v103, v131                             // 000000009BE4: 0ACF0767

0000000000009be8 <label_1C7D>:
	v_cmp_u_f32_e64 s[46:47], v76, v76                         // 000000009BE8: D048002E 0002994C
	v_add3_u32 v16, v76, v19, 1                                // 000000009BF0: D1FF0010 0206274C
	v_cndmask_b32_e64 v4, v16, v18, s[46:47]                   // 000000009BF8: D1000004 00BA2510
	v_cmp_u_f32_e64 s[46:47], v77, v77                         // 000000009C00: D048002E 00029B4D
	v_add3_u32 v16, v77, v19, 1                                // 000000009C08: D1FF0010 0206274D
	v_cndmask_b32_e64 v5, v16, v18, s[46:47]                   // 000000009C10: D1000005 00BA2510
	v_perm_b32 v76, v5, v4, s52                                // 000000009C18: D1ED004C 00D20905
	v_cmp_u_f32_e64 s[46:47], v78, v78                         // 000000009C20: D048002E 00029D4E
	v_add3_u32 v16, v78, v19, 1                                // 000000009C28: D1FF0010 0206274E
	v_cndmask_b32_e64 v4, v16, v18, s[46:47]                   // 000000009C30: D1000004 00BA2510
	v_cmp_u_f32_e64 s[46:47], v79, v79                         // 000000009C38: D048002E 00029F4F
	v_add3_u32 v16, v79, v19, 1                                // 000000009C40: D1FF0010 0206274F
	v_cndmask_b32_e64 v5, v16, v18, s[46:47]                   // 000000009C48: D1000005 00BA2510
	v_perm_b32 v77, v5, v4, s52                                // 000000009C50: D1ED004D 00D20905
	v_cmp_u_f32_e64 s[46:47], v80, v80                         // 000000009C58: D048002E 0002A150
	v_add3_u32 v16, v80, v19, 1                                // 000000009C60: D1FF0010 02062750
	v_cndmask_b32_e64 v4, v16, v18, s[46:47]                   // 000000009C68: D1000004 00BA2510
	v_cmp_u_f32_e64 s[46:47], v81, v81                         // 000000009C70: D048002E 0002A351
	v_add3_u32 v16, v81, v19, 1                                // 000000009C78: D1FF0010 02062751
	v_cndmask_b32_e64 v5, v16, v18, s[46:47]                   // 000000009C80: D1000005 00BA2510
	v_perm_b32 v78, v5, v4, s52                                // 000000009C88: D1ED004E 00D20905
	v_cmp_u_f32_e64 s[46:47], v82, v82                         // 000000009C90: D048002E 0002A552
	v_add3_u32 v16, v82, v19, 1                                // 000000009C98: D1FF0010 02062752
	v_cndmask_b32_e64 v4, v16, v18, s[46:47]                   // 000000009CA0: D1000004 00BA2510
	v_cmp_u_f32_e64 s[46:47], v83, v83                         // 000000009CA8: D048002E 0002A753
	v_add3_u32 v16, v83, v19, 1                                // 000000009CB0: D1FF0010 02062753
	v_cndmask_b32_e64 v5, v16, v18, s[46:47]                   // 000000009CB8: D1000005 00BA2510
	v_perm_b32 v79, v5, v4, s52                                // 000000009CC0: D1ED004F 00D20905
	v_cmp_u_f32_e64 s[46:47], v84, v84                         // 000000009CC8: D048002E 0002A954
	v_add3_u32 v16, v84, v19, 1                                // 000000009CD0: D1FF0010 02062754
	v_cndmask_b32_e64 v4, v16, v18, s[46:47]                   // 000000009CD8: D1000004 00BA2510
	v_cmp_u_f32_e64 s[46:47], v85, v85                         // 000000009CE0: D048002E 0002AB55
	v_add3_u32 v16, v85, v19, 1                                // 000000009CE8: D1FF0010 02062755
	v_cndmask_b32_e64 v5, v16, v18, s[46:47]                   // 000000009CF0: D1000005 00BA2510
	v_perm_b32 v80, v5, v4, s52                                // 000000009CF8: D1ED0050 00D20905
	v_cmp_u_f32_e64 s[46:47], v86, v86                         // 000000009D00: D048002E 0002AD56
	v_add3_u32 v16, v86, v19, 1                                // 000000009D08: D1FF0010 02062756
	v_cndmask_b32_e64 v4, v16, v18, s[46:47]                   // 000000009D10: D1000004 00BA2510
	v_cmp_u_f32_e64 s[46:47], v87, v87                         // 000000009D18: D048002E 0002AF57
	v_add3_u32 v16, v87, v19, 1                                // 000000009D20: D1FF0010 02062757
	v_cndmask_b32_e64 v5, v16, v18, s[46:47]                   // 000000009D28: D1000005 00BA2510
	v_perm_b32 v81, v5, v4, s52                                // 000000009D30: D1ED0051 00D20905
	v_cmp_u_f32_e64 s[46:47], v88, v88                         // 000000009D38: D048002E 0002B158
	v_add3_u32 v16, v88, v19, 1                                // 000000009D40: D1FF0010 02062758
	v_cndmask_b32_e64 v4, v16, v18, s[46:47]                   // 000000009D48: D1000004 00BA2510
	v_cmp_u_f32_e64 s[46:47], v89, v89                         // 000000009D50: D048002E 0002B359
	v_add3_u32 v16, v89, v19, 1                                // 000000009D58: D1FF0010 02062759
	v_cndmask_b32_e64 v5, v16, v18, s[46:47]                   // 000000009D60: D1000005 00BA2510
	v_perm_b32 v82, v5, v4, s52                                // 000000009D68: D1ED0052 00D20905
	v_cmp_u_f32_e64 s[46:47], v90, v90                         // 000000009D70: D048002E 0002B55A
	v_add3_u32 v16, v90, v19, 1                                // 000000009D78: D1FF0010 0206275A
	v_cndmask_b32_e64 v4, v16, v18, s[46:47]                   // 000000009D80: D1000004 00BA2510
	v_cmp_u_f32_e64 s[46:47], v91, v91                         // 000000009D88: D048002E 0002B75B
	v_add3_u32 v16, v91, v19, 1                                // 000000009D90: D1FF0010 0206275B
	v_cndmask_b32_e64 v5, v16, v18, s[46:47]                   // 000000009D98: D1000005 00BA2510
	v_perm_b32 v83, v5, v4, s52                                // 000000009DA0: D1ED0053 00D20905
	v_cmp_u_f32_e64 s[46:47], v92, v92                         // 000000009DA8: D048002E 0002B95C
	v_add3_u32 v16, v92, v19, 1                                // 000000009DB0: D1FF0010 0206275C
	v_cndmask_b32_e64 v4, v16, v18, s[46:47]                   // 000000009DB8: D1000004 00BA2510
	v_cmp_u_f32_e64 s[46:47], v93, v93                         // 000000009DC0: D048002E 0002BB5D
	v_add3_u32 v16, v93, v19, 1                                // 000000009DC8: D1FF0010 0206275D
	v_cndmask_b32_e64 v5, v16, v18, s[46:47]                   // 000000009DD0: D1000005 00BA2510
	v_perm_b32 v84, v5, v4, s52                                // 000000009DD8: D1ED0054 00D20905
	v_cmp_u_f32_e64 s[46:47], v94, v94                         // 000000009DE0: D048002E 0002BD5E
	v_add3_u32 v16, v94, v19, 1                                // 000000009DE8: D1FF0010 0206275E
	v_cndmask_b32_e64 v4, v16, v18, s[46:47]                   // 000000009DF0: D1000004 00BA2510
	v_cmp_u_f32_e64 s[46:47], v95, v95                         // 000000009DF8: D048002E 0002BF5F
	v_add3_u32 v16, v95, v19, 1                                // 000000009E00: D1FF0010 0206275F
	v_cndmask_b32_e64 v5, v16, v18, s[46:47]                   // 000000009E08: D1000005 00BA2510
	v_perm_b32 v85, v5, v4, s52                                // 000000009E10: D1ED0055 00D20905
	v_cmp_u_f32_e64 s[46:47], v96, v96                         // 000000009E18: D048002E 0002C160
	v_add3_u32 v16, v96, v19, 1                                // 000000009E20: D1FF0010 02062760
	v_cndmask_b32_e64 v4, v16, v18, s[46:47]                   // 000000009E28: D1000004 00BA2510
	v_cmp_u_f32_e64 s[46:47], v97, v97                         // 000000009E30: D048002E 0002C361
	v_add3_u32 v16, v97, v19, 1                                // 000000009E38: D1FF0010 02062761
	v_cndmask_b32_e64 v5, v16, v18, s[46:47]                   // 000000009E40: D1000005 00BA2510
	v_perm_b32 v86, v5, v4, s52                                // 000000009E48: D1ED0056 00D20905
	v_cmp_u_f32_e64 s[46:47], v98, v98                         // 000000009E50: D048002E 0002C562
	v_add3_u32 v16, v98, v19, 1                                // 000000009E58: D1FF0010 02062762
	v_cndmask_b32_e64 v4, v16, v18, s[46:47]                   // 000000009E60: D1000004 00BA2510
	v_cmp_u_f32_e64 s[46:47], v99, v99                         // 000000009E68: D048002E 0002C763
	v_add3_u32 v16, v99, v19, 1                                // 000000009E70: D1FF0010 02062763
	v_cndmask_b32_e64 v5, v16, v18, s[46:47]                   // 000000009E78: D1000005 00BA2510
	v_perm_b32 v87, v5, v4, s52                                // 000000009E80: D1ED0057 00D20905
	v_cmp_u_f32_e64 s[46:47], v100, v100                       // 000000009E88: D048002E 0002C964
	v_add3_u32 v16, v100, v19, 1                               // 000000009E90: D1FF0010 02062764
	v_cndmask_b32_e64 v4, v16, v18, s[46:47]                   // 000000009E98: D1000004 00BA2510
	v_cmp_u_f32_e64 s[46:47], v101, v101                       // 000000009EA0: D048002E 0002CB65
	v_add3_u32 v16, v101, v19, 1                               // 000000009EA8: D1FF0010 02062765
	v_cndmask_b32_e64 v5, v16, v18, s[46:47]                   // 000000009EB0: D1000005 00BA2510
	v_perm_b32 v88, v5, v4, s52                                // 000000009EB8: D1ED0058 00D20905
	v_cmp_u_f32_e64 s[46:47], v102, v102                       // 000000009EC0: D048002E 0002CD66
	v_add3_u32 v16, v102, v19, 1                               // 000000009EC8: D1FF0010 02062766
	v_cndmask_b32_e64 v4, v16, v18, s[46:47]                   // 000000009ED0: D1000004 00BA2510
	v_cmp_u_f32_e64 s[46:47], v103, v103                       // 000000009ED8: D048002E 0002CF67
	v_add3_u32 v16, v103, v19, 1                               // 000000009EE0: D1FF0010 02062767
	v_cndmask_b32_e64 v5, v16, v18, s[46:47]                   // 000000009EE8: D1000005 00BA2510
	v_perm_b32 v89, v5, v4, s52                                // 000000009EF0: D1ED0059 00D20905
	ds_write_b64 v20, v[76:77]                                 // 000000009EF8: D89A0000 00004C14
	ds_write_b64 v20, v[78:79] offset:2176                     // 000000009F00: D89A0880 00004E14
	ds_write_b64 v20, v[80:81] offset:4352                     // 000000009F08: D89A1100 00005014
	ds_write_b64 v20, v[82:83] offset:6528                     // 000000009F10: D89A1980 00005214
	ds_write_b64 v20, v[84:85] offset:8704                     // 000000009F18: D89A2200 00005414
	ds_write_b64 v20, v[86:87] offset:10880                    // 000000009F20: D89A2A80 00005614
	ds_write_b64 v20, v[88:89] offset:13056                    // 000000009F28: D89A3300 00005814
	v_lshrrev_b32_e32 v4, 5, v0                                // 000000009F30: 20080085
	v_xor_b32_e32 v5, 1, v4                                    // 000000009F34: 2A0A0881
	s_mul_i32 s60, s65, 2                                      // 000000009F38: 923C8241
	s_cmp_eq_u32 s88, 0                                        // 000000009F3C: BF068058
	s_cselect_b32 s61, 1, 4                                    // 000000009F40: 853D8481
	s_mul_i32 s60, s61, s60                                    // 000000009F44: 923C3C3D
	v_readlane_b32 s82, v3, 0                                  // 000000009F48: D2890052 00010103
	s_lshr_b32 s61, s82, 24                                    // 000000009F50: 8F3D9852
	s_and_b32 s82, s82, 0xffffff                               // 000000009F54: 8652FF52 00FFFFFF
	s_mul_i32 s82, s82, s71                                    // 000000009F5C: 92524752
	s_mul_i32 s61, s60, s61                                    // 000000009F60: 923D3D3C
	s_add_u32 s82, s82, s61                                    // 000000009F64: 80523D52
	v_mul_lo_u32 v6, v5, s82                                   // 000000009F68: D2850006 0000A505
	v_readlane_b32 s82, v3, 1                                  // 000000009F70: D2890052 00010303
	s_lshr_b32 s61, s82, 24                                    // 000000009F78: 8F3D9852
	s_and_b32 s82, s82, 0xffffff                               // 000000009F7C: 8652FF52 00FFFFFF
	s_mul_i32 s82, s82, s71                                    // 000000009F84: 92524752
	s_mul_i32 s61, s60, s61                                    // 000000009F88: 923D3D3C
	s_add_u32 s82, s82, s61                                    // 000000009F8C: 80523D52
	v_mul_lo_u32 v7, v4, s82                                   // 000000009F90: D2850007 0000A504
	v_add_u32_e32 v58, v6, v7                                  // 000000009F98: 68740F06
	v_readlane_b32 s82, v3, 2                                  // 000000009F9C: D2890052 00010503
	s_lshr_b32 s61, s82, 24                                    // 000000009FA4: 8F3D9852
	s_and_b32 s82, s82, 0xffffff                               // 000000009FA8: 8652FF52 00FFFFFF
	s_mul_i32 s82, s82, s71                                    // 000000009FB0: 92524752
	s_mul_i32 s61, s60, s61                                    // 000000009FB4: 923D3D3C
	s_add_u32 s82, s82, s61                                    // 000000009FB8: 80523D52
	v_mul_lo_u32 v6, v5, s82                                   // 000000009FBC: D2850006 0000A505
	v_readlane_b32 s82, v3, 3                                  // 000000009FC4: D2890052 00010703
	s_lshr_b32 s61, s82, 24                                    // 000000009FCC: 8F3D9852
	s_and_b32 s82, s82, 0xffffff                               // 000000009FD0: 8652FF52 00FFFFFF
	s_mul_i32 s82, s82, s71                                    // 000000009FD8: 92524752
	s_mul_i32 s61, s60, s61                                    // 000000009FDC: 923D3D3C
	s_add_u32 s82, s82, s61                                    // 000000009FE0: 80523D52
	v_mul_lo_u32 v7, v4, s82                                   // 000000009FE4: D2850007 0000A504
	v_add_u32_e32 v59, v6, v7                                  // 000000009FEC: 68760F06
	v_readlane_b32 s82, v3, 4                                  // 000000009FF0: D2890052 00010903
	s_lshr_b32 s61, s82, 24                                    // 000000009FF8: 8F3D9852
	s_and_b32 s82, s82, 0xffffff                               // 000000009FFC: 8652FF52 00FFFFFF
	s_mul_i32 s82, s82, s71                                    // 00000000A004: 92524752
	s_mul_i32 s61, s60, s61                                    // 00000000A008: 923D3D3C
	s_add_u32 s82, s82, s61                                    // 00000000A00C: 80523D52
	v_mul_lo_u32 v6, v5, s82                                   // 00000000A010: D2850006 0000A505
	v_readlane_b32 s82, v3, 5                                  // 00000000A018: D2890052 00010B03
	s_lshr_b32 s61, s82, 24                                    // 00000000A020: 8F3D9852
	s_and_b32 s82, s82, 0xffffff                               // 00000000A024: 8652FF52 00FFFFFF
	s_mul_i32 s82, s82, s71                                    // 00000000A02C: 92524752
	s_mul_i32 s61, s60, s61                                    // 00000000A030: 923D3D3C
	s_add_u32 s82, s82, s61                                    // 00000000A034: 80523D52
	v_mul_lo_u32 v7, v4, s82                                   // 00000000A038: D2850007 0000A504
	v_add_u32_e32 v60, v6, v7                                  // 00000000A040: 68780F06
	v_readlane_b32 s82, v3, 6                                  // 00000000A044: D2890052 00010D03
	s_lshr_b32 s61, s82, 24                                    // 00000000A04C: 8F3D9852
	s_and_b32 s82, s82, 0xffffff                               // 00000000A050: 8652FF52 00FFFFFF
	s_mul_i32 s82, s82, s71                                    // 00000000A058: 92524752
	s_mul_i32 s61, s60, s61                                    // 00000000A05C: 923D3D3C
	s_add_u32 s82, s82, s61                                    // 00000000A060: 80523D52
	v_mul_lo_u32 v6, v5, s82                                   // 00000000A064: D2850006 0000A505
	v_readlane_b32 s82, v3, 7                                  // 00000000A06C: D2890052 00010F03
	s_lshr_b32 s61, s82, 24                                    // 00000000A074: 8F3D9852
	s_and_b32 s82, s82, 0xffffff                               // 00000000A078: 8652FF52 00FFFFFF
	s_mul_i32 s82, s82, s71                                    // 00000000A080: 92524752
	s_mul_i32 s61, s60, s61                                    // 00000000A084: 923D3D3C
	s_add_u32 s82, s82, s61                                    // 00000000A088: 80523D52
	v_mul_lo_u32 v7, v4, s82                                   // 00000000A08C: D2850007 0000A504
	v_add_u32_e32 v61, v6, v7                                  // 00000000A094: 687A0F06
	v_readlane_b32 s82, v3, 8                                  // 00000000A098: D2890052 00011103
	s_lshr_b32 s61, s82, 24                                    // 00000000A0A0: 8F3D9852
	s_and_b32 s82, s82, 0xffffff                               // 00000000A0A4: 8652FF52 00FFFFFF
	s_mul_i32 s82, s82, s71                                    // 00000000A0AC: 92524752
	s_mul_i32 s61, s60, s61                                    // 00000000A0B0: 923D3D3C
	s_add_u32 s82, s82, s61                                    // 00000000A0B4: 80523D52
	v_mul_lo_u32 v6, v5, s82                                   // 00000000A0B8: D2850006 0000A505
	v_readlane_b32 s82, v3, 9                                  // 00000000A0C0: D2890052 00011303
	s_lshr_b32 s61, s82, 24                                    // 00000000A0C8: 8F3D9852
	s_and_b32 s82, s82, 0xffffff                               // 00000000A0CC: 8652FF52 00FFFFFF
	s_mul_i32 s82, s82, s71                                    // 00000000A0D4: 92524752
	s_mul_i32 s61, s60, s61                                    // 00000000A0D8: 923D3D3C
	s_add_u32 s82, s82, s61                                    // 00000000A0DC: 80523D52
	v_mul_lo_u32 v7, v4, s82                                   // 00000000A0E0: D2850007 0000A504
	v_add_u32_e32 v62, v6, v7                                  // 00000000A0E8: 687C0F06
	v_readlane_b32 s82, v3, 10                                 // 00000000A0EC: D2890052 00011503
	s_lshr_b32 s61, s82, 24                                    // 00000000A0F4: 8F3D9852
	s_and_b32 s82, s82, 0xffffff                               // 00000000A0F8: 8652FF52 00FFFFFF
	s_mul_i32 s82, s82, s71                                    // 00000000A100: 92524752
	s_mul_i32 s61, s60, s61                                    // 00000000A104: 923D3D3C
	s_add_u32 s82, s82, s61                                    // 00000000A108: 80523D52
	v_mul_lo_u32 v6, v5, s82                                   // 00000000A10C: D2850006 0000A505
	v_readlane_b32 s82, v3, 11                                 // 00000000A114: D2890052 00011703
	s_lshr_b32 s61, s82, 24                                    // 00000000A11C: 8F3D9852
	s_and_b32 s82, s82, 0xffffff                               // 00000000A120: 8652FF52 00FFFFFF
	s_mul_i32 s82, s82, s71                                    // 00000000A128: 92524752
	s_mul_i32 s61, s60, s61                                    // 00000000A12C: 923D3D3C
	s_add_u32 s82, s82, s61                                    // 00000000A130: 80523D52
	v_mul_lo_u32 v7, v4, s82                                   // 00000000A134: D2850007 0000A504
	v_add_u32_e32 v63, v6, v7                                  // 00000000A13C: 687E0F06
	v_readlane_b32 s82, v3, 12                                 // 00000000A140: D2890052 00011903
	s_lshr_b32 s61, s82, 24                                    // 00000000A148: 8F3D9852
	s_and_b32 s82, s82, 0xffffff                               // 00000000A14C: 8652FF52 00FFFFFF
	s_mul_i32 s82, s82, s71                                    // 00000000A154: 92524752
	s_mul_i32 s61, s60, s61                                    // 00000000A158: 923D3D3C
	s_add_u32 s82, s82, s61                                    // 00000000A15C: 80523D52
	v_mul_lo_u32 v6, v5, s82                                   // 00000000A160: D2850006 0000A505
	v_readlane_b32 s82, v3, 13                                 // 00000000A168: D2890052 00011B03
	s_lshr_b32 s61, s82, 24                                    // 00000000A170: 8F3D9852
	s_and_b32 s82, s82, 0xffffff                               // 00000000A174: 8652FF52 00FFFFFF
	s_mul_i32 s82, s82, s71                                    // 00000000A17C: 92524752
	s_mul_i32 s61, s60, s61                                    // 00000000A180: 923D3D3C
	s_add_u32 s82, s82, s61                                    // 00000000A184: 80523D52
	v_mul_lo_u32 v7, v4, s82                                   // 00000000A188: D2850007 0000A504
	v_add_u32_e32 v64, v6, v7                                  // 00000000A190: 68800F06
	v_readlane_b32 s82, v3, 14                                 // 00000000A194: D2890052 00011D03
	s_lshr_b32 s61, s82, 24                                    // 00000000A19C: 8F3D9852
	s_and_b32 s82, s82, 0xffffff                               // 00000000A1A0: 8652FF52 00FFFFFF
	s_mul_i32 s82, s82, s71                                    // 00000000A1A8: 92524752
	s_mul_i32 s61, s60, s61                                    // 00000000A1AC: 923D3D3C
	s_add_u32 s82, s82, s61                                    // 00000000A1B0: 80523D52
	v_mul_lo_u32 v6, v5, s82                                   // 00000000A1B4: D2850006 0000A505
	v_readlane_b32 s82, v3, 15                                 // 00000000A1BC: D2890052 00011F03
	s_lshr_b32 s61, s82, 24                                    // 00000000A1C4: 8F3D9852
	s_and_b32 s82, s82, 0xffffff                               // 00000000A1C8: 8652FF52 00FFFFFF
	s_mul_i32 s82, s82, s71                                    // 00000000A1D0: 92524752
	s_mul_i32 s61, s60, s61                                    // 00000000A1D4: 923D3D3C
	s_add_u32 s82, s82, s61                                    // 00000000A1D8: 80523D52
	v_mul_lo_u32 v7, v4, s82                                   // 00000000A1DC: D2850007 0000A504
	v_add_u32_e32 v65, v6, v7                                  // 00000000A1E4: 68820F06
	v_readlane_b32 s82, v3, 16                                 // 00000000A1E8: D2890052 00012103
	s_lshr_b32 s61, s82, 24                                    // 00000000A1F0: 8F3D9852
	s_and_b32 s82, s82, 0xffffff                               // 00000000A1F4: 8652FF52 00FFFFFF
	s_mul_i32 s82, s82, s71                                    // 00000000A1FC: 92524752
	s_mul_i32 s61, s60, s61                                    // 00000000A200: 923D3D3C
	s_add_u32 s82, s82, s61                                    // 00000000A204: 80523D52
	v_mul_lo_u32 v6, v5, s82                                   // 00000000A208: D2850006 0000A505
	v_readlane_b32 s82, v3, 17                                 // 00000000A210: D2890052 00012303
	s_lshr_b32 s61, s82, 24                                    // 00000000A218: 8F3D9852
	s_and_b32 s82, s82, 0xffffff                               // 00000000A21C: 8652FF52 00FFFFFF
	s_mul_i32 s82, s82, s71                                    // 00000000A224: 92524752
	s_mul_i32 s61, s60, s61                                    // 00000000A228: 923D3D3C
	s_add_u32 s82, s82, s61                                    // 00000000A22C: 80523D52
	v_mul_lo_u32 v7, v4, s82                                   // 00000000A230: D2850007 0000A504
	v_add_u32_e32 v66, v6, v7                                  // 00000000A238: 68840F06
	v_readlane_b32 s82, v3, 18                                 // 00000000A23C: D2890052 00012503
	s_lshr_b32 s61, s82, 24                                    // 00000000A244: 8F3D9852
	s_and_b32 s82, s82, 0xffffff                               // 00000000A248: 8652FF52 00FFFFFF
	s_mul_i32 s82, s82, s71                                    // 00000000A250: 92524752
	s_mul_i32 s61, s60, s61                                    // 00000000A254: 923D3D3C
	s_add_u32 s82, s82, s61                                    // 00000000A258: 80523D52
	v_mul_lo_u32 v6, v5, s82                                   // 00000000A25C: D2850006 0000A505
	v_readlane_b32 s82, v3, 19                                 // 00000000A264: D2890052 00012703
	s_lshr_b32 s61, s82, 24                                    // 00000000A26C: 8F3D9852
	s_and_b32 s82, s82, 0xffffff                               // 00000000A270: 8652FF52 00FFFFFF
	s_mul_i32 s82, s82, s71                                    // 00000000A278: 92524752
	s_mul_i32 s61, s60, s61                                    // 00000000A27C: 923D3D3C
	s_add_u32 s82, s82, s61                                    // 00000000A280: 80523D52
	v_mul_lo_u32 v7, v4, s82                                   // 00000000A284: D2850007 0000A504
	v_add_u32_e32 v67, v6, v7                                  // 00000000A28C: 68860F06
	v_readlane_b32 s82, v3, 20                                 // 00000000A290: D2890052 00012903
	s_lshr_b32 s61, s82, 24                                    // 00000000A298: 8F3D9852
	s_and_b32 s82, s82, 0xffffff                               // 00000000A29C: 8652FF52 00FFFFFF
	s_mul_i32 s82, s82, s71                                    // 00000000A2A4: 92524752
	s_mul_i32 s61, s60, s61                                    // 00000000A2A8: 923D3D3C
	s_add_u32 s82, s82, s61                                    // 00000000A2AC: 80523D52
	v_mul_lo_u32 v6, v5, s82                                   // 00000000A2B0: D2850006 0000A505
	v_readlane_b32 s82, v3, 21                                 // 00000000A2B8: D2890052 00012B03
	s_lshr_b32 s61, s82, 24                                    // 00000000A2C0: 8F3D9852
	s_and_b32 s82, s82, 0xffffff                               // 00000000A2C4: 8652FF52 00FFFFFF
	s_mul_i32 s82, s82, s71                                    // 00000000A2CC: 92524752
	s_mul_i32 s61, s60, s61                                    // 00000000A2D0: 923D3D3C
	s_add_u32 s82, s82, s61                                    // 00000000A2D4: 80523D52
	v_mul_lo_u32 v7, v4, s82                                   // 00000000A2D8: D2850007 0000A504
	v_add_u32_e32 v68, v6, v7                                  // 00000000A2E0: 68880F06
	v_readlane_b32 s82, v3, 22                                 // 00000000A2E4: D2890052 00012D03
	s_lshr_b32 s61, s82, 24                                    // 00000000A2EC: 8F3D9852
	s_and_b32 s82, s82, 0xffffff                               // 00000000A2F0: 8652FF52 00FFFFFF
	s_mul_i32 s82, s82, s71                                    // 00000000A2F8: 92524752
	s_mul_i32 s61, s60, s61                                    // 00000000A2FC: 923D3D3C
	s_add_u32 s82, s82, s61                                    // 00000000A300: 80523D52
	v_mul_lo_u32 v6, v5, s82                                   // 00000000A304: D2850006 0000A505
	v_readlane_b32 s82, v3, 23                                 // 00000000A30C: D2890052 00012F03
	s_lshr_b32 s61, s82, 24                                    // 00000000A314: 8F3D9852
	s_and_b32 s82, s82, 0xffffff                               // 00000000A318: 8652FF52 00FFFFFF
	s_mul_i32 s82, s82, s71                                    // 00000000A320: 92524752
	s_mul_i32 s61, s60, s61                                    // 00000000A324: 923D3D3C
	s_add_u32 s82, s82, s61                                    // 00000000A328: 80523D52
	v_mul_lo_u32 v7, v4, s82                                   // 00000000A32C: D2850007 0000A504
	v_add_u32_e32 v69, v6, v7                                  // 00000000A334: 688A0F06
	v_readlane_b32 s82, v3, 24                                 // 00000000A338: D2890052 00013103
	s_lshr_b32 s61, s82, 24                                    // 00000000A340: 8F3D9852
	s_and_b32 s82, s82, 0xffffff                               // 00000000A344: 8652FF52 00FFFFFF
	s_mul_i32 s82, s82, s71                                    // 00000000A34C: 92524752
	s_mul_i32 s61, s60, s61                                    // 00000000A350: 923D3D3C
	s_add_u32 s82, s82, s61                                    // 00000000A354: 80523D52
	v_mul_lo_u32 v6, v5, s82                                   // 00000000A358: D2850006 0000A505
	v_readlane_b32 s82, v3, 25                                 // 00000000A360: D2890052 00013303
	s_lshr_b32 s61, s82, 24                                    // 00000000A368: 8F3D9852
	s_and_b32 s82, s82, 0xffffff                               // 00000000A36C: 8652FF52 00FFFFFF
	s_mul_i32 s82, s82, s71                                    // 00000000A374: 92524752
	s_mul_i32 s61, s60, s61                                    // 00000000A378: 923D3D3C
	s_add_u32 s82, s82, s61                                    // 00000000A37C: 80523D52
	v_mul_lo_u32 v7, v4, s82                                   // 00000000A380: D2850007 0000A504
	v_add_u32_e32 v70, v6, v7                                  // 00000000A388: 688C0F06
	v_readlane_b32 s82, v3, 26                                 // 00000000A38C: D2890052 00013503
	s_lshr_b32 s61, s82, 24                                    // 00000000A394: 8F3D9852
	s_and_b32 s82, s82, 0xffffff                               // 00000000A398: 8652FF52 00FFFFFF
	s_mul_i32 s82, s82, s71                                    // 00000000A3A0: 92524752
	s_mul_i32 s61, s60, s61                                    // 00000000A3A4: 923D3D3C
	s_add_u32 s82, s82, s61                                    // 00000000A3A8: 80523D52
	v_mul_lo_u32 v6, v5, s82                                   // 00000000A3AC: D2850006 0000A505
	v_readlane_b32 s82, v3, 27                                 // 00000000A3B4: D2890052 00013703
	s_lshr_b32 s61, s82, 24                                    // 00000000A3BC: 8F3D9852
	s_and_b32 s82, s82, 0xffffff                               // 00000000A3C0: 8652FF52 00FFFFFF
	s_mul_i32 s82, s82, s71                                    // 00000000A3C8: 92524752
	s_mul_i32 s61, s60, s61                                    // 00000000A3CC: 923D3D3C
	s_add_u32 s82, s82, s61                                    // 00000000A3D0: 80523D52
	v_mul_lo_u32 v7, v4, s82                                   // 00000000A3D4: D2850007 0000A504
	v_add_u32_e32 v71, v6, v7                                  // 00000000A3DC: 688E0F06
	v_and_b32_e32 v4, 31, v0                                   // 00000000A3E0: 2608009F
	v_lshrrev_b32_e32 v4, 1, v4                                // 00000000A3E4: 20080881
	s_cmp_eq_u32 s88, 0                                        // 00000000A3E8: BF068058
	s_cselect_b32 s61, 2, 4                                    // 00000000A3EC: 853D8482
	v_mul_lo_u32 v4, v4, s61                                   // 00000000A3F0: D2850004 00007B04
	v_and_b32_e64 v5, v0, 1                                    // 00000000A3F8: D1130005 00010300
	v_add_u32_e32 v4, v4, v5                                   // 00000000A400: 68080B04
	v_lshlrev_b32_e32 v4, 2, v4                                // 00000000A404: 24080882
	v_add_u32_e32 v58, v58, v4                                 // 00000000A408: 6874093A
	v_add_u32_e32 v59, v59, v4                                 // 00000000A40C: 6876093B
	v_add_u32_e32 v60, v60, v4                                 // 00000000A410: 6878093C
	v_add_u32_e32 v61, v61, v4                                 // 00000000A414: 687A093D
	v_add_u32_e32 v62, v62, v4                                 // 00000000A418: 687C093E
	v_add_u32_e32 v63, v63, v4                                 // 00000000A41C: 687E093F
	v_add_u32_e32 v64, v64, v4                                 // 00000000A420: 68800940
	v_add_u32_e32 v65, v65, v4                                 // 00000000A424: 68820941
	v_add_u32_e32 v66, v66, v4                                 // 00000000A428: 68840942
	v_add_u32_e32 v67, v67, v4                                 // 00000000A42C: 68860943
	v_add_u32_e32 v68, v68, v4                                 // 00000000A430: 68880944
	v_add_u32_e32 v69, v69, v4                                 // 00000000A434: 688A0945
	v_add_u32_e32 v70, v70, v4                                 // 00000000A438: 688C0946
	v_add_u32_e32 v71, v71, v4                                 // 00000000A43C: 688E0947
	s_waitcnt lgkmcnt(0)                                       // 00000000A440: BF8CC07F
	s_barrier                                                  // 00000000A444: BF8A0000
	ds_read_b32 v76, v21                                       // 00000000A448: D86C0000 4C000015
	ds_read_b32 v77, v21 offset:64                             // 00000000A450: D86C0040 4D000015
	ds_read_b32 v78, v21 offset:2176                           // 00000000A458: D86C0880 4E000015
	ds_read_b32 v79, v21 offset:2240                           // 00000000A460: D86C08C0 4F000015
	ds_read_b32 v80, v21 offset:4352                           // 00000000A468: D86C1100 50000015
	ds_read_b32 v81, v21 offset:4416                           // 00000000A470: D86C1140 51000015
	ds_read_b32 v82, v21 offset:6528                           // 00000000A478: D86C1980 52000015
	ds_read_b32 v83, v21 offset:6592                           // 00000000A480: D86C19C0 53000015
	ds_read_b32 v84, v21 offset:8704                           // 00000000A488: D86C2200 54000015
	ds_read_b32 v85, v21 offset:8768                           // 00000000A490: D86C2240 55000015
	ds_read_b32 v86, v21 offset:10880                          // 00000000A498: D86C2A80 56000015
	ds_read_b32 v87, v21 offset:10944                          // 00000000A4A0: D86C2AC0 57000015
	ds_read_b32 v88, v21 offset:13056                          // 00000000A4A8: D86C3300 58000015
	ds_read_b32 v89, v21 offset:13120                          // 00000000A4B0: D86C3340 59000015
	s_waitcnt lgkmcnt(0)                                       // 00000000A4B8: BF8CC07F
	s_mov_b32 s36, -1                                          // 00000000A4BC: BEA400C1
	s_mov_b32 s37, -1                                          // 00000000A4C0: BEA500C1
	v_mov_b32_e32 v7, 0                                        // 00000000A4C4: 7E0E0280
	s_or_b32 s9, s9, 0x40000                                   // 00000000A4C8: 8709FF09 00040000
	s_mov_b64 exec, s[36:37]                                   // 00000000A4D0: BEFE0124
	v_mov_b32_e32 v6, v58                                      // 00000000A4D4: 7E0C033A
	s_mov_b64 s[60:61], 0                                      // 00000000A4D8: BEBC0180
	v_readlane_b32 s82, v3, 0                                  // 00000000A4DC: D2890052 00010103
	s_and_b32 s82, s82, 0xffffff                               // 00000000A4E4: 8652FF52 00FFFFFF
	s_cmp_lt_u32 s82, s66                                      // 00000000A4EC: BF0A4252
	s_cselect_b32 s20, s36, s60                                // 00000000A4F0: 85143C24
	v_readlane_b32 s82, v3, 1                                  // 00000000A4F4: D2890052 00010303
	s_and_b32 s82, s82, 0xffffff                               // 00000000A4FC: 8652FF52 00FFFFFF
	s_cmp_lt_u32 s82, s66                                      // 00000000A504: BF0A4252
	s_cselect_b32 s21, s36, s60                                // 00000000A508: 85153C24
	s_mov_b64 exec, s[20:21]                                   // 00000000A50C: BEFE0114
	buffer_store_dword v76, v6, s[8:11], 0 offen               // 00000000A510: E0701000 80024C06
	s_mov_b64 exec, s[36:37]                                   // 00000000A518: BEFE0124
	v_mov_b32_e32 v6, v59                                      // 00000000A51C: 7E0C033B
	s_mov_b64 s[60:61], 0                                      // 00000000A520: BEBC0180
	v_readlane_b32 s82, v3, 2                                  // 00000000A524: D2890052 00010503
	s_and_b32 s82, s82, 0xffffff                               // 00000000A52C: 8652FF52 00FFFFFF
	s_cmp_lt_u32 s82, s66                                      // 00000000A534: BF0A4252
	s_cselect_b32 s20, s36, s60                                // 00000000A538: 85143C24
	v_readlane_b32 s82, v3, 3                                  // 00000000A53C: D2890052 00010703
	s_and_b32 s82, s82, 0xffffff                               // 00000000A544: 8652FF52 00FFFFFF
	s_cmp_lt_u32 s82, s66                                      // 00000000A54C: BF0A4252
	s_cselect_b32 s21, s36, s60                                // 00000000A550: 85153C24
	s_mov_b64 exec, s[20:21]                                   // 00000000A554: BEFE0114
	buffer_store_dword v77, v6, s[8:11], 0 offen               // 00000000A558: E0701000 80024D06
	s_mov_b64 exec, s[36:37]                                   // 00000000A560: BEFE0124
	v_mov_b32_e32 v6, v60                                      // 00000000A564: 7E0C033C
	s_mov_b64 s[60:61], 0                                      // 00000000A568: BEBC0180
	v_readlane_b32 s82, v3, 4                                  // 00000000A56C: D2890052 00010903
	s_and_b32 s82, s82, 0xffffff                               // 00000000A574: 8652FF52 00FFFFFF
	s_cmp_lt_u32 s82, s66                                      // 00000000A57C: BF0A4252
	s_cselect_b32 s20, s36, s60                                // 00000000A580: 85143C24
	v_readlane_b32 s82, v3, 5                                  // 00000000A584: D2890052 00010B03
	s_and_b32 s82, s82, 0xffffff                               // 00000000A58C: 8652FF52 00FFFFFF
	s_cmp_lt_u32 s82, s66                                      // 00000000A594: BF0A4252
	s_cselect_b32 s21, s36, s60                                // 00000000A598: 85153C24
	s_mov_b64 exec, s[20:21]                                   // 00000000A59C: BEFE0114
	buffer_store_dword v78, v6, s[8:11], 0 offen               // 00000000A5A0: E0701000 80024E06
	s_mov_b64 exec, s[36:37]                                   // 00000000A5A8: BEFE0124
	v_mov_b32_e32 v6, v61                                      // 00000000A5AC: 7E0C033D
	s_mov_b64 s[60:61], 0                                      // 00000000A5B0: BEBC0180
	v_readlane_b32 s82, v3, 6                                  // 00000000A5B4: D2890052 00010D03
	s_and_b32 s82, s82, 0xffffff                               // 00000000A5BC: 8652FF52 00FFFFFF
	s_cmp_lt_u32 s82, s66                                      // 00000000A5C4: BF0A4252
	s_cselect_b32 s20, s36, s60                                // 00000000A5C8: 85143C24
	v_readlane_b32 s82, v3, 7                                  // 00000000A5CC: D2890052 00010F03
	s_and_b32 s82, s82, 0xffffff                               // 00000000A5D4: 8652FF52 00FFFFFF
	s_cmp_lt_u32 s82, s66                                      // 00000000A5DC: BF0A4252
	s_cselect_b32 s21, s36, s60                                // 00000000A5E0: 85153C24
	s_mov_b64 exec, s[20:21]                                   // 00000000A5E4: BEFE0114
	buffer_store_dword v79, v6, s[8:11], 0 offen               // 00000000A5E8: E0701000 80024F06
	s_mov_b64 exec, s[36:37]                                   // 00000000A5F0: BEFE0124
	v_mov_b32_e32 v6, v62                                      // 00000000A5F4: 7E0C033E
	s_mov_b64 s[60:61], 0                                      // 00000000A5F8: BEBC0180
	v_readlane_b32 s82, v3, 8                                  // 00000000A5FC: D2890052 00011103
	s_and_b32 s82, s82, 0xffffff                               // 00000000A604: 8652FF52 00FFFFFF
	s_cmp_lt_u32 s82, s66                                      // 00000000A60C: BF0A4252
	s_cselect_b32 s20, s36, s60                                // 00000000A610: 85143C24
	v_readlane_b32 s82, v3, 9                                  // 00000000A614: D2890052 00011303
	s_and_b32 s82, s82, 0xffffff                               // 00000000A61C: 8652FF52 00FFFFFF
	s_cmp_lt_u32 s82, s66                                      // 00000000A624: BF0A4252
	s_cselect_b32 s21, s36, s60                                // 00000000A628: 85153C24
	s_mov_b64 exec, s[20:21]                                   // 00000000A62C: BEFE0114
	buffer_store_dword v80, v6, s[8:11], 0 offen               // 00000000A630: E0701000 80025006
	s_mov_b64 exec, s[36:37]                                   // 00000000A638: BEFE0124
	v_mov_b32_e32 v6, v63                                      // 00000000A63C: 7E0C033F
	s_mov_b64 s[60:61], 0                                      // 00000000A640: BEBC0180
	v_readlane_b32 s82, v3, 10                                 // 00000000A644: D2890052 00011503
	s_and_b32 s82, s82, 0xffffff                               // 00000000A64C: 8652FF52 00FFFFFF
	s_cmp_lt_u32 s82, s66                                      // 00000000A654: BF0A4252
	s_cselect_b32 s20, s36, s60                                // 00000000A658: 85143C24
	v_readlane_b32 s82, v3, 11                                 // 00000000A65C: D2890052 00011703
	s_and_b32 s82, s82, 0xffffff                               // 00000000A664: 8652FF52 00FFFFFF
	s_cmp_lt_u32 s82, s66                                      // 00000000A66C: BF0A4252
	s_cselect_b32 s21, s36, s60                                // 00000000A670: 85153C24
	s_mov_b64 exec, s[20:21]                                   // 00000000A674: BEFE0114
	buffer_store_dword v81, v6, s[8:11], 0 offen               // 00000000A678: E0701000 80025106
	s_mov_b64 exec, s[36:37]                                   // 00000000A680: BEFE0124
	v_mov_b32_e32 v6, v64                                      // 00000000A684: 7E0C0340
	s_mov_b64 s[60:61], 0                                      // 00000000A688: BEBC0180
	v_readlane_b32 s82, v3, 12                                 // 00000000A68C: D2890052 00011903
	s_and_b32 s82, s82, 0xffffff                               // 00000000A694: 8652FF52 00FFFFFF
	s_cmp_lt_u32 s82, s66                                      // 00000000A69C: BF0A4252
	s_cselect_b32 s20, s36, s60                                // 00000000A6A0: 85143C24
	v_readlane_b32 s82, v3, 13                                 // 00000000A6A4: D2890052 00011B03
	s_and_b32 s82, s82, 0xffffff                               // 00000000A6AC: 8652FF52 00FFFFFF
	s_cmp_lt_u32 s82, s66                                      // 00000000A6B4: BF0A4252
	s_cselect_b32 s21, s36, s60                                // 00000000A6B8: 85153C24
	s_mov_b64 exec, s[20:21]                                   // 00000000A6BC: BEFE0114
	buffer_store_dword v82, v6, s[8:11], 0 offen               // 00000000A6C0: E0701000 80025206
	s_mov_b64 exec, s[36:37]                                   // 00000000A6C8: BEFE0124
	v_mov_b32_e32 v6, v65                                      // 00000000A6CC: 7E0C0341
	s_mov_b64 s[60:61], 0                                      // 00000000A6D0: BEBC0180
	v_readlane_b32 s82, v3, 14                                 // 00000000A6D4: D2890052 00011D03
	s_and_b32 s82, s82, 0xffffff                               // 00000000A6DC: 8652FF52 00FFFFFF
	s_cmp_lt_u32 s82, s66                                      // 00000000A6E4: BF0A4252
	s_cselect_b32 s20, s36, s60                                // 00000000A6E8: 85143C24
	v_readlane_b32 s82, v3, 15                                 // 00000000A6EC: D2890052 00011F03
	s_and_b32 s82, s82, 0xffffff                               // 00000000A6F4: 8652FF52 00FFFFFF
	s_cmp_lt_u32 s82, s66                                      // 00000000A6FC: BF0A4252
	s_cselect_b32 s21, s36, s60                                // 00000000A700: 85153C24
	s_mov_b64 exec, s[20:21]                                   // 00000000A704: BEFE0114
	buffer_store_dword v83, v6, s[8:11], 0 offen               // 00000000A708: E0701000 80025306
	s_mov_b64 exec, s[36:37]                                   // 00000000A710: BEFE0124
	v_mov_b32_e32 v6, v66                                      // 00000000A714: 7E0C0342
	s_mov_b64 s[60:61], 0                                      // 00000000A718: BEBC0180
	v_readlane_b32 s82, v3, 16                                 // 00000000A71C: D2890052 00012103
	s_and_b32 s82, s82, 0xffffff                               // 00000000A724: 8652FF52 00FFFFFF
	s_cmp_lt_u32 s82, s66                                      // 00000000A72C: BF0A4252
	s_cselect_b32 s20, s36, s60                                // 00000000A730: 85143C24
	v_readlane_b32 s82, v3, 17                                 // 00000000A734: D2890052 00012303
	s_and_b32 s82, s82, 0xffffff                               // 00000000A73C: 8652FF52 00FFFFFF
	s_cmp_lt_u32 s82, s66                                      // 00000000A744: BF0A4252
	s_cselect_b32 s21, s36, s60                                // 00000000A748: 85153C24
	s_mov_b64 exec, s[20:21]                                   // 00000000A74C: BEFE0114
	buffer_store_dword v84, v6, s[8:11], 0 offen               // 00000000A750: E0701000 80025406
	s_mov_b64 exec, s[36:37]                                   // 00000000A758: BEFE0124
	v_mov_b32_e32 v6, v67                                      // 00000000A75C: 7E0C0343
	s_mov_b64 s[60:61], 0                                      // 00000000A760: BEBC0180
	v_readlane_b32 s82, v3, 18                                 // 00000000A764: D2890052 00012503
	s_and_b32 s82, s82, 0xffffff                               // 00000000A76C: 8652FF52 00FFFFFF
	s_cmp_lt_u32 s82, s66                                      // 00000000A774: BF0A4252
	s_cselect_b32 s20, s36, s60                                // 00000000A778: 85143C24
	v_readlane_b32 s82, v3, 19                                 // 00000000A77C: D2890052 00012703
	s_and_b32 s82, s82, 0xffffff                               // 00000000A784: 8652FF52 00FFFFFF
	s_cmp_lt_u32 s82, s66                                      // 00000000A78C: BF0A4252
	s_cselect_b32 s21, s36, s60                                // 00000000A790: 85153C24
	s_mov_b64 exec, s[20:21]                                   // 00000000A794: BEFE0114
	buffer_store_dword v85, v6, s[8:11], 0 offen               // 00000000A798: E0701000 80025506
	s_mov_b64 exec, s[36:37]                                   // 00000000A7A0: BEFE0124
	v_mov_b32_e32 v6, v68                                      // 00000000A7A4: 7E0C0344
	s_mov_b64 s[60:61], 0                                      // 00000000A7A8: BEBC0180
	v_readlane_b32 s82, v3, 20                                 // 00000000A7AC: D2890052 00012903
	s_and_b32 s82, s82, 0xffffff                               // 00000000A7B4: 8652FF52 00FFFFFF
	s_cmp_lt_u32 s82, s66                                      // 00000000A7BC: BF0A4252
	s_cselect_b32 s20, s36, s60                                // 00000000A7C0: 85143C24
	v_readlane_b32 s82, v3, 21                                 // 00000000A7C4: D2890052 00012B03
	s_and_b32 s82, s82, 0xffffff                               // 00000000A7CC: 8652FF52 00FFFFFF
	s_cmp_lt_u32 s82, s66                                      // 00000000A7D4: BF0A4252
	s_cselect_b32 s21, s36, s60                                // 00000000A7D8: 85153C24
	s_mov_b64 exec, s[20:21]                                   // 00000000A7DC: BEFE0114
	buffer_store_dword v86, v6, s[8:11], 0 offen               // 00000000A7E0: E0701000 80025606
	s_mov_b64 exec, s[36:37]                                   // 00000000A7E8: BEFE0124
	v_mov_b32_e32 v6, v69                                      // 00000000A7EC: 7E0C0345
	s_mov_b64 s[60:61], 0                                      // 00000000A7F0: BEBC0180
	v_readlane_b32 s82, v3, 22                                 // 00000000A7F4: D2890052 00012D03
	s_and_b32 s82, s82, 0xffffff                               // 00000000A7FC: 8652FF52 00FFFFFF
	s_cmp_lt_u32 s82, s66                                      // 00000000A804: BF0A4252
	s_cselect_b32 s20, s36, s60                                // 00000000A808: 85143C24
	v_readlane_b32 s82, v3, 23                                 // 00000000A80C: D2890052 00012F03
	s_and_b32 s82, s82, 0xffffff                               // 00000000A814: 8652FF52 00FFFFFF
	s_cmp_lt_u32 s82, s66                                      // 00000000A81C: BF0A4252
	s_cselect_b32 s21, s36, s60                                // 00000000A820: 85153C24
	s_mov_b64 exec, s[20:21]                                   // 00000000A824: BEFE0114
	buffer_store_dword v87, v6, s[8:11], 0 offen               // 00000000A828: E0701000 80025706
	s_mov_b64 exec, s[36:37]                                   // 00000000A830: BEFE0124
	v_mov_b32_e32 v6, v70                                      // 00000000A834: 7E0C0346
	s_mov_b64 s[60:61], 0                                      // 00000000A838: BEBC0180
	v_readlane_b32 s82, v3, 24                                 // 00000000A83C: D2890052 00013103
	s_and_b32 s82, s82, 0xffffff                               // 00000000A844: 8652FF52 00FFFFFF
	s_cmp_lt_u32 s82, s66                                      // 00000000A84C: BF0A4252
	s_cselect_b32 s20, s36, s60                                // 00000000A850: 85143C24
	v_readlane_b32 s82, v3, 25                                 // 00000000A854: D2890052 00013303
	s_and_b32 s82, s82, 0xffffff                               // 00000000A85C: 8652FF52 00FFFFFF
	s_cmp_lt_u32 s82, s66                                      // 00000000A864: BF0A4252
	s_cselect_b32 s21, s36, s60                                // 00000000A868: 85153C24
	s_mov_b64 exec, s[20:21]                                   // 00000000A86C: BEFE0114
	buffer_store_dword v88, v6, s[8:11], 0 offen               // 00000000A870: E0701000 80025806
	s_mov_b64 exec, s[36:37]                                   // 00000000A878: BEFE0124
	v_mov_b32_e32 v6, v71                                      // 00000000A87C: 7E0C0347
	s_mov_b64 s[60:61], 0                                      // 00000000A880: BEBC0180
	v_readlane_b32 s82, v3, 26                                 // 00000000A884: D2890052 00013503
	s_and_b32 s82, s82, 0xffffff                               // 00000000A88C: 8652FF52 00FFFFFF
	s_cmp_lt_u32 s82, s66                                      // 00000000A894: BF0A4252
	s_cselect_b32 s20, s36, s60                                // 00000000A898: 85143C24
	v_readlane_b32 s82, v3, 27                                 // 00000000A89C: D2890052 00013703
	s_and_b32 s82, s82, 0xffffff                               // 00000000A8A4: 8652FF52 00FFFFFF
	s_cmp_lt_u32 s82, s66                                      // 00000000A8AC: BF0A4252
	s_cselect_b32 s21, s36, s60                                // 00000000A8B0: 85153C24
	s_mov_b64 exec, s[20:21]                                   // 00000000A8B4: BEFE0114
	buffer_store_dword v89, v6, s[8:11], 0 offen               // 00000000A8B8: E0701000 80025906
	s_mov_b64 exec, s[36:37]                                   // 00000000A8C0: BEFE0124
	s_branch label_25AB                                        // 00000000A8C4: BF8205F6

000000000000a8c8 <label_1FB5>:
	ds_write_b64 v20, v[76:77]                                 // 00000000A8C8: D89A0000 00004C14
	ds_write_b64 v20, v[80:81] offset:2176                     // 00000000A8D0: D89A0880 00005014
	ds_write_b64 v20, v[84:85] offset:4352                     // 00000000A8D8: D89A1100 00005414
	ds_write_b64 v20, v[88:89] offset:6528                     // 00000000A8E0: D89A1980 00005814
	ds_write_b64 v20, v[92:93] offset:8704                     // 00000000A8E8: D89A2200 00005C14
	ds_write_b64 v20, v[96:97] offset:10880                    // 00000000A8F0: D89A2A80 00006014
	ds_write_b64 v20, v[100:101] offset:13056                  // 00000000A8F8: D89A3300 00006414
	v_lshrrev_b32_e32 v4, 5, v0                                // 00000000A900: 20080085
	v_xor_b32_e32 v5, 1, v4                                    // 00000000A904: 2A0A0881
	s_mul_i32 s60, s65, 2                                      // 00000000A908: 923C8241
	s_cmp_eq_u32 s88, 0                                        // 00000000A90C: BF068058
	s_cselect_b32 s61, 1, 4                                    // 00000000A910: 853D8481
	s_mul_i32 s60, s61, s60                                    // 00000000A914: 923C3C3D
	v_readlane_b32 s82, v3, 0                                  // 00000000A918: D2890052 00010103
	s_lshr_b32 s61, s82, 24                                    // 00000000A920: 8F3D9852
	s_and_b32 s82, s82, 0xffffff                               // 00000000A924: 8652FF52 00FFFFFF
	s_mul_i32 s82, s82, s71                                    // 00000000A92C: 92524752
	s_mul_i32 s61, s60, s61                                    // 00000000A930: 923D3D3C
	s_add_u32 s82, s82, s61                                    // 00000000A934: 80523D52
	v_mul_lo_u32 v6, v5, s82                                   // 00000000A938: D2850006 0000A505
	v_readlane_b32 s82, v3, 1                                  // 00000000A940: D2890052 00010303
	s_lshr_b32 s61, s82, 24                                    // 00000000A948: 8F3D9852
	s_and_b32 s82, s82, 0xffffff                               // 00000000A94C: 8652FF52 00FFFFFF
	s_mul_i32 s82, s82, s71                                    // 00000000A954: 92524752
	s_mul_i32 s61, s60, s61                                    // 00000000A958: 923D3D3C
	s_add_u32 s82, s82, s61                                    // 00000000A95C: 80523D52
	v_mul_lo_u32 v7, v4, s82                                   // 00000000A960: D2850007 0000A504
	v_add_u32_e32 v58, v6, v7                                  // 00000000A968: 68740F06
	v_readlane_b32 s82, v3, 2                                  // 00000000A96C: D2890052 00010503
	s_lshr_b32 s61, s82, 24                                    // 00000000A974: 8F3D9852
	s_and_b32 s82, s82, 0xffffff                               // 00000000A978: 8652FF52 00FFFFFF
	s_mul_i32 s82, s82, s71                                    // 00000000A980: 92524752
	s_mul_i32 s61, s60, s61                                    // 00000000A984: 923D3D3C
	s_add_u32 s82, s82, s61                                    // 00000000A988: 80523D52
	v_mul_lo_u32 v6, v5, s82                                   // 00000000A98C: D2850006 0000A505
	v_readlane_b32 s82, v3, 3                                  // 00000000A994: D2890052 00010703
	s_lshr_b32 s61, s82, 24                                    // 00000000A99C: 8F3D9852
	s_and_b32 s82, s82, 0xffffff                               // 00000000A9A0: 8652FF52 00FFFFFF
	s_mul_i32 s82, s82, s71                                    // 00000000A9A8: 92524752
	s_mul_i32 s61, s60, s61                                    // 00000000A9AC: 923D3D3C
	s_add_u32 s82, s82, s61                                    // 00000000A9B0: 80523D52
	v_mul_lo_u32 v7, v4, s82                                   // 00000000A9B4: D2850007 0000A504
	v_add_u32_e32 v59, v6, v7                                  // 00000000A9BC: 68760F06
	v_readlane_b32 s82, v3, 4                                  // 00000000A9C0: D2890052 00010903
	s_lshr_b32 s61, s82, 24                                    // 00000000A9C8: 8F3D9852
	s_and_b32 s82, s82, 0xffffff                               // 00000000A9CC: 8652FF52 00FFFFFF
	s_mul_i32 s82, s82, s71                                    // 00000000A9D4: 92524752
	s_mul_i32 s61, s60, s61                                    // 00000000A9D8: 923D3D3C
	s_add_u32 s82, s82, s61                                    // 00000000A9DC: 80523D52
	v_mul_lo_u32 v6, v5, s82                                   // 00000000A9E0: D2850006 0000A505
	v_readlane_b32 s82, v3, 5                                  // 00000000A9E8: D2890052 00010B03
	s_lshr_b32 s61, s82, 24                                    // 00000000A9F0: 8F3D9852
	s_and_b32 s82, s82, 0xffffff                               // 00000000A9F4: 8652FF52 00FFFFFF
	s_mul_i32 s82, s82, s71                                    // 00000000A9FC: 92524752
	s_mul_i32 s61, s60, s61                                    // 00000000AA00: 923D3D3C
	s_add_u32 s82, s82, s61                                    // 00000000AA04: 80523D52
	v_mul_lo_u32 v7, v4, s82                                   // 00000000AA08: D2850007 0000A504
	v_add_u32_e32 v60, v6, v7                                  // 00000000AA10: 68780F06
	v_readlane_b32 s82, v3, 6                                  // 00000000AA14: D2890052 00010D03
	s_lshr_b32 s61, s82, 24                                    // 00000000AA1C: 8F3D9852
	s_and_b32 s82, s82, 0xffffff                               // 00000000AA20: 8652FF52 00FFFFFF
	s_mul_i32 s82, s82, s71                                    // 00000000AA28: 92524752
	s_mul_i32 s61, s60, s61                                    // 00000000AA2C: 923D3D3C
	s_add_u32 s82, s82, s61                                    // 00000000AA30: 80523D52
	v_mul_lo_u32 v6, v5, s82                                   // 00000000AA34: D2850006 0000A505
	v_readlane_b32 s82, v3, 7                                  // 00000000AA3C: D2890052 00010F03
	s_lshr_b32 s61, s82, 24                                    // 00000000AA44: 8F3D9852
	s_and_b32 s82, s82, 0xffffff                               // 00000000AA48: 8652FF52 00FFFFFF
	s_mul_i32 s82, s82, s71                                    // 00000000AA50: 92524752
	s_mul_i32 s61, s60, s61                                    // 00000000AA54: 923D3D3C
	s_add_u32 s82, s82, s61                                    // 00000000AA58: 80523D52
	v_mul_lo_u32 v7, v4, s82                                   // 00000000AA5C: D2850007 0000A504
	v_add_u32_e32 v61, v6, v7                                  // 00000000AA64: 687A0F06
	v_readlane_b32 s82, v3, 8                                  // 00000000AA68: D2890052 00011103
	s_lshr_b32 s61, s82, 24                                    // 00000000AA70: 8F3D9852
	s_and_b32 s82, s82, 0xffffff                               // 00000000AA74: 8652FF52 00FFFFFF
	s_mul_i32 s82, s82, s71                                    // 00000000AA7C: 92524752
	s_mul_i32 s61, s60, s61                                    // 00000000AA80: 923D3D3C
	s_add_u32 s82, s82, s61                                    // 00000000AA84: 80523D52
	v_mul_lo_u32 v6, v5, s82                                   // 00000000AA88: D2850006 0000A505
	v_readlane_b32 s82, v3, 9                                  // 00000000AA90: D2890052 00011303
	s_lshr_b32 s61, s82, 24                                    // 00000000AA98: 8F3D9852
	s_and_b32 s82, s82, 0xffffff                               // 00000000AA9C: 8652FF52 00FFFFFF
	s_mul_i32 s82, s82, s71                                    // 00000000AAA4: 92524752
	s_mul_i32 s61, s60, s61                                    // 00000000AAA8: 923D3D3C
	s_add_u32 s82, s82, s61                                    // 00000000AAAC: 80523D52
	v_mul_lo_u32 v7, v4, s82                                   // 00000000AAB0: D2850007 0000A504
	v_add_u32_e32 v62, v6, v7                                  // 00000000AAB8: 687C0F06
	v_readlane_b32 s82, v3, 10                                 // 00000000AABC: D2890052 00011503
	s_lshr_b32 s61, s82, 24                                    // 00000000AAC4: 8F3D9852
	s_and_b32 s82, s82, 0xffffff                               // 00000000AAC8: 8652FF52 00FFFFFF
	s_mul_i32 s82, s82, s71                                    // 00000000AAD0: 92524752
	s_mul_i32 s61, s60, s61                                    // 00000000AAD4: 923D3D3C
	s_add_u32 s82, s82, s61                                    // 00000000AAD8: 80523D52
	v_mul_lo_u32 v6, v5, s82                                   // 00000000AADC: D2850006 0000A505
	v_readlane_b32 s82, v3, 11                                 // 00000000AAE4: D2890052 00011703
	s_lshr_b32 s61, s82, 24                                    // 00000000AAEC: 8F3D9852
	s_and_b32 s82, s82, 0xffffff                               // 00000000AAF0: 8652FF52 00FFFFFF
	s_mul_i32 s82, s82, s71                                    // 00000000AAF8: 92524752
	s_mul_i32 s61, s60, s61                                    // 00000000AAFC: 923D3D3C
	s_add_u32 s82, s82, s61                                    // 00000000AB00: 80523D52
	v_mul_lo_u32 v7, v4, s82                                   // 00000000AB04: D2850007 0000A504
	v_add_u32_e32 v63, v6, v7                                  // 00000000AB0C: 687E0F06
	v_readlane_b32 s82, v3, 12                                 // 00000000AB10: D2890052 00011903
	s_lshr_b32 s61, s82, 24                                    // 00000000AB18: 8F3D9852
	s_and_b32 s82, s82, 0xffffff                               // 00000000AB1C: 8652FF52 00FFFFFF
	s_mul_i32 s82, s82, s71                                    // 00000000AB24: 92524752
	s_mul_i32 s61, s60, s61                                    // 00000000AB28: 923D3D3C
	s_add_u32 s82, s82, s61                                    // 00000000AB2C: 80523D52
	v_mul_lo_u32 v6, v5, s82                                   // 00000000AB30: D2850006 0000A505
	v_readlane_b32 s82, v3, 13                                 // 00000000AB38: D2890052 00011B03
	s_lshr_b32 s61, s82, 24                                    // 00000000AB40: 8F3D9852
	s_and_b32 s82, s82, 0xffffff                               // 00000000AB44: 8652FF52 00FFFFFF
	s_mul_i32 s82, s82, s71                                    // 00000000AB4C: 92524752
	s_mul_i32 s61, s60, s61                                    // 00000000AB50: 923D3D3C
	s_add_u32 s82, s82, s61                                    // 00000000AB54: 80523D52
	v_mul_lo_u32 v7, v4, s82                                   // 00000000AB58: D2850007 0000A504
	v_add_u32_e32 v64, v6, v7                                  // 00000000AB60: 68800F06
	v_readlane_b32 s82, v3, 14                                 // 00000000AB64: D2890052 00011D03
	s_lshr_b32 s61, s82, 24                                    // 00000000AB6C: 8F3D9852
	s_and_b32 s82, s82, 0xffffff                               // 00000000AB70: 8652FF52 00FFFFFF
	s_mul_i32 s82, s82, s71                                    // 00000000AB78: 92524752
	s_mul_i32 s61, s60, s61                                    // 00000000AB7C: 923D3D3C
	s_add_u32 s82, s82, s61                                    // 00000000AB80: 80523D52
	v_mul_lo_u32 v6, v5, s82                                   // 00000000AB84: D2850006 0000A505
	v_readlane_b32 s82, v3, 15                                 // 00000000AB8C: D2890052 00011F03
	s_lshr_b32 s61, s82, 24                                    // 00000000AB94: 8F3D9852
	s_and_b32 s82, s82, 0xffffff                               // 00000000AB98: 8652FF52 00FFFFFF
	s_mul_i32 s82, s82, s71                                    // 00000000ABA0: 92524752
	s_mul_i32 s61, s60, s61                                    // 00000000ABA4: 923D3D3C
	s_add_u32 s82, s82, s61                                    // 00000000ABA8: 80523D52
	v_mul_lo_u32 v7, v4, s82                                   // 00000000ABAC: D2850007 0000A504
	v_add_u32_e32 v65, v6, v7                                  // 00000000ABB4: 68820F06
	v_readlane_b32 s82, v3, 16                                 // 00000000ABB8: D2890052 00012103
	s_lshr_b32 s61, s82, 24                                    // 00000000ABC0: 8F3D9852
	s_and_b32 s82, s82, 0xffffff                               // 00000000ABC4: 8652FF52 00FFFFFF
	s_mul_i32 s82, s82, s71                                    // 00000000ABCC: 92524752
	s_mul_i32 s61, s60, s61                                    // 00000000ABD0: 923D3D3C
	s_add_u32 s82, s82, s61                                    // 00000000ABD4: 80523D52
	v_mul_lo_u32 v6, v5, s82                                   // 00000000ABD8: D2850006 0000A505
	v_readlane_b32 s82, v3, 17                                 // 00000000ABE0: D2890052 00012303
	s_lshr_b32 s61, s82, 24                                    // 00000000ABE8: 8F3D9852
	s_and_b32 s82, s82, 0xffffff                               // 00000000ABEC: 8652FF52 00FFFFFF
	s_mul_i32 s82, s82, s71                                    // 00000000ABF4: 92524752
	s_mul_i32 s61, s60, s61                                    // 00000000ABF8: 923D3D3C
	s_add_u32 s82, s82, s61                                    // 00000000ABFC: 80523D52
	v_mul_lo_u32 v7, v4, s82                                   // 00000000AC00: D2850007 0000A504
	v_add_u32_e32 v66, v6, v7                                  // 00000000AC08: 68840F06
	v_readlane_b32 s82, v3, 18                                 // 00000000AC0C: D2890052 00012503
	s_lshr_b32 s61, s82, 24                                    // 00000000AC14: 8F3D9852
	s_and_b32 s82, s82, 0xffffff                               // 00000000AC18: 8652FF52 00FFFFFF
	s_mul_i32 s82, s82, s71                                    // 00000000AC20: 92524752
	s_mul_i32 s61, s60, s61                                    // 00000000AC24: 923D3D3C
	s_add_u32 s82, s82, s61                                    // 00000000AC28: 80523D52
	v_mul_lo_u32 v6, v5, s82                                   // 00000000AC2C: D2850006 0000A505
	v_readlane_b32 s82, v3, 19                                 // 00000000AC34: D2890052 00012703
	s_lshr_b32 s61, s82, 24                                    // 00000000AC3C: 8F3D9852
	s_and_b32 s82, s82, 0xffffff                               // 00000000AC40: 8652FF52 00FFFFFF
	s_mul_i32 s82, s82, s71                                    // 00000000AC48: 92524752
	s_mul_i32 s61, s60, s61                                    // 00000000AC4C: 923D3D3C
	s_add_u32 s82, s82, s61                                    // 00000000AC50: 80523D52
	v_mul_lo_u32 v7, v4, s82                                   // 00000000AC54: D2850007 0000A504
	v_add_u32_e32 v67, v6, v7                                  // 00000000AC5C: 68860F06
	v_readlane_b32 s82, v3, 20                                 // 00000000AC60: D2890052 00012903
	s_lshr_b32 s61, s82, 24                                    // 00000000AC68: 8F3D9852
	s_and_b32 s82, s82, 0xffffff                               // 00000000AC6C: 8652FF52 00FFFFFF
	s_mul_i32 s82, s82, s71                                    // 00000000AC74: 92524752
	s_mul_i32 s61, s60, s61                                    // 00000000AC78: 923D3D3C
	s_add_u32 s82, s82, s61                                    // 00000000AC7C: 80523D52
	v_mul_lo_u32 v6, v5, s82                                   // 00000000AC80: D2850006 0000A505
	v_readlane_b32 s82, v3, 21                                 // 00000000AC88: D2890052 00012B03
	s_lshr_b32 s61, s82, 24                                    // 00000000AC90: 8F3D9852
	s_and_b32 s82, s82, 0xffffff                               // 00000000AC94: 8652FF52 00FFFFFF
	s_mul_i32 s82, s82, s71                                    // 00000000AC9C: 92524752
	s_mul_i32 s61, s60, s61                                    // 00000000ACA0: 923D3D3C
	s_add_u32 s82, s82, s61                                    // 00000000ACA4: 80523D52
	v_mul_lo_u32 v7, v4, s82                                   // 00000000ACA8: D2850007 0000A504
	v_add_u32_e32 v68, v6, v7                                  // 00000000ACB0: 68880F06
	v_readlane_b32 s82, v3, 22                                 // 00000000ACB4: D2890052 00012D03
	s_lshr_b32 s61, s82, 24                                    // 00000000ACBC: 8F3D9852
	s_and_b32 s82, s82, 0xffffff                               // 00000000ACC0: 8652FF52 00FFFFFF
	s_mul_i32 s82, s82, s71                                    // 00000000ACC8: 92524752
	s_mul_i32 s61, s60, s61                                    // 00000000ACCC: 923D3D3C
	s_add_u32 s82, s82, s61                                    // 00000000ACD0: 80523D52
	v_mul_lo_u32 v6, v5, s82                                   // 00000000ACD4: D2850006 0000A505
	v_readlane_b32 s82, v3, 23                                 // 00000000ACDC: D2890052 00012F03
	s_lshr_b32 s61, s82, 24                                    // 00000000ACE4: 8F3D9852
	s_and_b32 s82, s82, 0xffffff                               // 00000000ACE8: 8652FF52 00FFFFFF
	s_mul_i32 s82, s82, s71                                    // 00000000ACF0: 92524752
	s_mul_i32 s61, s60, s61                                    // 00000000ACF4: 923D3D3C
	s_add_u32 s82, s82, s61                                    // 00000000ACF8: 80523D52
	v_mul_lo_u32 v7, v4, s82                                   // 00000000ACFC: D2850007 0000A504
	v_add_u32_e32 v69, v6, v7                                  // 00000000AD04: 688A0F06
	v_readlane_b32 s82, v3, 24                                 // 00000000AD08: D2890052 00013103
	s_lshr_b32 s61, s82, 24                                    // 00000000AD10: 8F3D9852
	s_and_b32 s82, s82, 0xffffff                               // 00000000AD14: 8652FF52 00FFFFFF
	s_mul_i32 s82, s82, s71                                    // 00000000AD1C: 92524752
	s_mul_i32 s61, s60, s61                                    // 00000000AD20: 923D3D3C
	s_add_u32 s82, s82, s61                                    // 00000000AD24: 80523D52
	v_mul_lo_u32 v6, v5, s82                                   // 00000000AD28: D2850006 0000A505
	v_readlane_b32 s82, v3, 25                                 // 00000000AD30: D2890052 00013303
	s_lshr_b32 s61, s82, 24                                    // 00000000AD38: 8F3D9852
	s_and_b32 s82, s82, 0xffffff                               // 00000000AD3C: 8652FF52 00FFFFFF
	s_mul_i32 s82, s82, s71                                    // 00000000AD44: 92524752
	s_mul_i32 s61, s60, s61                                    // 00000000AD48: 923D3D3C
	s_add_u32 s82, s82, s61                                    // 00000000AD4C: 80523D52
	v_mul_lo_u32 v7, v4, s82                                   // 00000000AD50: D2850007 0000A504
	v_add_u32_e32 v70, v6, v7                                  // 00000000AD58: 688C0F06
	v_readlane_b32 s82, v3, 26                                 // 00000000AD5C: D2890052 00013503
	s_lshr_b32 s61, s82, 24                                    // 00000000AD64: 8F3D9852
	s_and_b32 s82, s82, 0xffffff                               // 00000000AD68: 8652FF52 00FFFFFF
	s_mul_i32 s82, s82, s71                                    // 00000000AD70: 92524752
	s_mul_i32 s61, s60, s61                                    // 00000000AD74: 923D3D3C
	s_add_u32 s82, s82, s61                                    // 00000000AD78: 80523D52
	v_mul_lo_u32 v6, v5, s82                                   // 00000000AD7C: D2850006 0000A505
	v_readlane_b32 s82, v3, 27                                 // 00000000AD84: D2890052 00013703
	s_lshr_b32 s61, s82, 24                                    // 00000000AD8C: 8F3D9852
	s_and_b32 s82, s82, 0xffffff                               // 00000000AD90: 8652FF52 00FFFFFF
	s_mul_i32 s82, s82, s71                                    // 00000000AD98: 92524752
	s_mul_i32 s61, s60, s61                                    // 00000000AD9C: 923D3D3C
	s_add_u32 s82, s82, s61                                    // 00000000ADA0: 80523D52
	v_mul_lo_u32 v7, v4, s82                                   // 00000000ADA4: D2850007 0000A504
	v_add_u32_e32 v71, v6, v7                                  // 00000000ADAC: 688E0F06
	v_and_b32_e32 v4, 31, v0                                   // 00000000ADB0: 2608009F
	v_lshrrev_b32_e32 v4, 1, v4                                // 00000000ADB4: 20080881
	s_cmp_eq_u32 s88, 0                                        // 00000000ADB8: BF068058
	s_cselect_b32 s61, 2, 4                                    // 00000000ADBC: 853D8482
	v_mul_lo_u32 v4, v4, s61                                   // 00000000ADC0: D2850004 00007B04
	v_and_b32_e64 v5, v0, 1                                    // 00000000ADC8: D1130005 00010300
	v_add_u32_e32 v4, v4, v5                                   // 00000000ADD0: 68080B04
	v_lshlrev_b32_e32 v4, 2, v4                                // 00000000ADD4: 24080882
	v_add_u32_e32 v58, v58, v4                                 // 00000000ADD8: 6874093A
	v_add_u32_e32 v59, v59, v4                                 // 00000000ADDC: 6876093B
	v_add_u32_e32 v60, v60, v4                                 // 00000000ADE0: 6878093C
	v_add_u32_e32 v61, v61, v4                                 // 00000000ADE4: 687A093D
	v_add_u32_e32 v62, v62, v4                                 // 00000000ADE8: 687C093E
	v_add_u32_e32 v63, v63, v4                                 // 00000000ADEC: 687E093F
	v_add_u32_e32 v64, v64, v4                                 // 00000000ADF0: 68800940
	v_add_u32_e32 v65, v65, v4                                 // 00000000ADF4: 68820941
	v_add_u32_e32 v66, v66, v4                                 // 00000000ADF8: 68840942
	v_add_u32_e32 v67, v67, v4                                 // 00000000ADFC: 68860943
	v_add_u32_e32 v68, v68, v4                                 // 00000000AE00: 68880944
	v_add_u32_e32 v69, v69, v4                                 // 00000000AE04: 688A0945
	v_add_u32_e32 v70, v70, v4                                 // 00000000AE08: 688C0946
	v_add_u32_e32 v71, v71, v4                                 // 00000000AE0C: 688E0947
	s_waitcnt lgkmcnt(0)                                       // 00000000AE10: BF8CC07F
	s_barrier                                                  // 00000000AE14: BF8A0000
	ds_read_b32 v76, v21                                       // 00000000AE18: D86C0000 4C000015
	ds_read_b32 v77, v21 offset:64                             // 00000000AE20: D86C0040 4D000015
	ds_read_b32 v80, v21 offset:2176                           // 00000000AE28: D86C0880 50000015
	ds_read_b32 v81, v21 offset:2240                           // 00000000AE30: D86C08C0 51000015
	ds_read_b32 v84, v21 offset:4352                           // 00000000AE38: D86C1100 54000015
	ds_read_b32 v85, v21 offset:4416                           // 00000000AE40: D86C1140 55000015
	ds_read_b32 v88, v21 offset:6528                           // 00000000AE48: D86C1980 58000015
	ds_read_b32 v89, v21 offset:6592                           // 00000000AE50: D86C19C0 59000015
	ds_read_b32 v92, v21 offset:8704                           // 00000000AE58: D86C2200 5C000015
	ds_read_b32 v93, v21 offset:8768                           // 00000000AE60: D86C2240 5D000015
	ds_read_b32 v96, v21 offset:10880                          // 00000000AE68: D86C2A80 60000015
	ds_read_b32 v97, v21 offset:10944                          // 00000000AE70: D86C2AC0 61000015
	ds_read_b32 v100, v21 offset:13056                         // 00000000AE78: D86C3300 64000015
	ds_read_b32 v101, v21 offset:13120                         // 00000000AE80: D86C3340 65000015
	s_waitcnt lgkmcnt(0)                                       // 00000000AE88: BF8CC07F
	s_mov_b32 s36, -1                                          // 00000000AE8C: BEA400C1
	s_mov_b32 s37, -1                                          // 00000000AE90: BEA500C1
	v_mov_b32_e32 v7, 0                                        // 00000000AE94: 7E0E0280
	s_mov_b64 exec, s[36:37]                                   // 00000000AE98: BEFE0124
	v_mov_b32_e32 v6, v58                                      // 00000000AE9C: 7E0C033A
	s_mov_b64 s[60:61], 0                                      // 00000000AEA0: BEBC0180
	v_readlane_b32 s82, v3, 0                                  // 00000000AEA4: D2890052 00010103
	s_and_b32 s82, s82, 0xffffff                               // 00000000AEAC: 8652FF52 00FFFFFF
	s_cmp_lt_u32 s82, s66                                      // 00000000AEB4: BF0A4252
	s_cselect_b32 s20, s36, s60                                // 00000000AEB8: 85143C24
	v_readlane_b32 s82, v3, 1                                  // 00000000AEBC: D2890052 00010303
	s_and_b32 s82, s82, 0xffffff                               // 00000000AEC4: 8652FF52 00FFFFFF
	s_cmp_lt_u32 s82, s66                                      // 00000000AECC: BF0A4252
	s_cselect_b32 s21, s36, s60                                // 00000000AED0: 85153C24
	s_mov_b64 exec, s[20:21]                                   // 00000000AED4: BEFE0114
	global_atomic_add_f32 v6, v76, s[8:9]                      // 00000000AED8: DD348000 00084C06
	s_mov_b64 exec, s[36:37]                                   // 00000000AEE0: BEFE0124
	v_mov_b32_e32 v6, v59                                      // 00000000AEE4: 7E0C033B
	s_mov_b64 s[60:61], 0                                      // 00000000AEE8: BEBC0180
	v_readlane_b32 s82, v3, 2                                  // 00000000AEEC: D2890052 00010503
	s_and_b32 s82, s82, 0xffffff                               // 00000000AEF4: 8652FF52 00FFFFFF
	s_cmp_lt_u32 s82, s66                                      // 00000000AEFC: BF0A4252
	s_cselect_b32 s20, s36, s60                                // 00000000AF00: 85143C24
	v_readlane_b32 s82, v3, 3                                  // 00000000AF04: D2890052 00010703
	s_and_b32 s82, s82, 0xffffff                               // 00000000AF0C: 8652FF52 00FFFFFF
	s_cmp_lt_u32 s82, s66                                      // 00000000AF14: BF0A4252
	s_cselect_b32 s21, s36, s60                                // 00000000AF18: 85153C24
	s_mov_b64 exec, s[20:21]                                   // 00000000AF1C: BEFE0114
	global_atomic_add_f32 v6, v77, s[8:9]                      // 00000000AF20: DD348000 00084D06
	s_mov_b64 exec, s[36:37]                                   // 00000000AF28: BEFE0124
	v_mov_b32_e32 v6, v60                                      // 00000000AF2C: 7E0C033C
	s_mov_b64 s[60:61], 0                                      // 00000000AF30: BEBC0180
	v_readlane_b32 s82, v3, 4                                  // 00000000AF34: D2890052 00010903
	s_and_b32 s82, s82, 0xffffff                               // 00000000AF3C: 8652FF52 00FFFFFF
	s_cmp_lt_u32 s82, s66                                      // 00000000AF44: BF0A4252
	s_cselect_b32 s20, s36, s60                                // 00000000AF48: 85143C24
	v_readlane_b32 s82, v3, 5                                  // 00000000AF4C: D2890052 00010B03
	s_and_b32 s82, s82, 0xffffff                               // 00000000AF54: 8652FF52 00FFFFFF
	s_cmp_lt_u32 s82, s66                                      // 00000000AF5C: BF0A4252
	s_cselect_b32 s21, s36, s60                                // 00000000AF60: 85153C24
	s_mov_b64 exec, s[20:21]                                   // 00000000AF64: BEFE0114
	global_atomic_add_f32 v6, v80, s[8:9]                      // 00000000AF68: DD348000 00085006
	s_mov_b64 exec, s[36:37]                                   // 00000000AF70: BEFE0124
	v_mov_b32_e32 v6, v61                                      // 00000000AF74: 7E0C033D
	s_mov_b64 s[60:61], 0                                      // 00000000AF78: BEBC0180
	v_readlane_b32 s82, v3, 6                                  // 00000000AF7C: D2890052 00010D03
	s_and_b32 s82, s82, 0xffffff                               // 00000000AF84: 8652FF52 00FFFFFF
	s_cmp_lt_u32 s82, s66                                      // 00000000AF8C: BF0A4252
	s_cselect_b32 s20, s36, s60                                // 00000000AF90: 85143C24
	v_readlane_b32 s82, v3, 7                                  // 00000000AF94: D2890052 00010F03
	s_and_b32 s82, s82, 0xffffff                               // 00000000AF9C: 8652FF52 00FFFFFF
	s_cmp_lt_u32 s82, s66                                      // 00000000AFA4: BF0A4252
	s_cselect_b32 s21, s36, s60                                // 00000000AFA8: 85153C24
	s_mov_b64 exec, s[20:21]                                   // 00000000AFAC: BEFE0114
	global_atomic_add_f32 v6, v81, s[8:9]                      // 00000000AFB0: DD348000 00085106
	s_mov_b64 exec, s[36:37]                                   // 00000000AFB8: BEFE0124
	v_mov_b32_e32 v6, v62                                      // 00000000AFBC: 7E0C033E
	s_mov_b64 s[60:61], 0                                      // 00000000AFC0: BEBC0180
	v_readlane_b32 s82, v3, 8                                  // 00000000AFC4: D2890052 00011103
	s_and_b32 s82, s82, 0xffffff                               // 00000000AFCC: 8652FF52 00FFFFFF
	s_cmp_lt_u32 s82, s66                                      // 00000000AFD4: BF0A4252
	s_cselect_b32 s20, s36, s60                                // 00000000AFD8: 85143C24
	v_readlane_b32 s82, v3, 9                                  // 00000000AFDC: D2890052 00011303
	s_and_b32 s82, s82, 0xffffff                               // 00000000AFE4: 8652FF52 00FFFFFF
	s_cmp_lt_u32 s82, s66                                      // 00000000AFEC: BF0A4252
	s_cselect_b32 s21, s36, s60                                // 00000000AFF0: 85153C24
	s_mov_b64 exec, s[20:21]                                   // 00000000AFF4: BEFE0114
	global_atomic_add_f32 v6, v84, s[8:9]                      // 00000000AFF8: DD348000 00085406
	s_mov_b64 exec, s[36:37]                                   // 00000000B000: BEFE0124
	v_mov_b32_e32 v6, v63                                      // 00000000B004: 7E0C033F
	s_mov_b64 s[60:61], 0                                      // 00000000B008: BEBC0180
	v_readlane_b32 s82, v3, 10                                 // 00000000B00C: D2890052 00011503
	s_and_b32 s82, s82, 0xffffff                               // 00000000B014: 8652FF52 00FFFFFF
	s_cmp_lt_u32 s82, s66                                      // 00000000B01C: BF0A4252
	s_cselect_b32 s20, s36, s60                                // 00000000B020: 85143C24
	v_readlane_b32 s82, v3, 11                                 // 00000000B024: D2890052 00011703
	s_and_b32 s82, s82, 0xffffff                               // 00000000B02C: 8652FF52 00FFFFFF
	s_cmp_lt_u32 s82, s66                                      // 00000000B034: BF0A4252
	s_cselect_b32 s21, s36, s60                                // 00000000B038: 85153C24
	s_mov_b64 exec, s[20:21]                                   // 00000000B03C: BEFE0114
	global_atomic_add_f32 v6, v85, s[8:9]                      // 00000000B040: DD348000 00085506
	s_mov_b64 exec, s[36:37]                                   // 00000000B048: BEFE0124
	v_mov_b32_e32 v6, v64                                      // 00000000B04C: 7E0C0340
	s_mov_b64 s[60:61], 0                                      // 00000000B050: BEBC0180
	v_readlane_b32 s82, v3, 12                                 // 00000000B054: D2890052 00011903
	s_and_b32 s82, s82, 0xffffff                               // 00000000B05C: 8652FF52 00FFFFFF
	s_cmp_lt_u32 s82, s66                                      // 00000000B064: BF0A4252
	s_cselect_b32 s20, s36, s60                                // 00000000B068: 85143C24
	v_readlane_b32 s82, v3, 13                                 // 00000000B06C: D2890052 00011B03
	s_and_b32 s82, s82, 0xffffff                               // 00000000B074: 8652FF52 00FFFFFF
	s_cmp_lt_u32 s82, s66                                      // 00000000B07C: BF0A4252
	s_cselect_b32 s21, s36, s60                                // 00000000B080: 85153C24
	s_mov_b64 exec, s[20:21]                                   // 00000000B084: BEFE0114
	global_atomic_add_f32 v6, v88, s[8:9]                      // 00000000B088: DD348000 00085806
	s_mov_b64 exec, s[36:37]                                   // 00000000B090: BEFE0124
	v_mov_b32_e32 v6, v65                                      // 00000000B094: 7E0C0341
	s_mov_b64 s[60:61], 0                                      // 00000000B098: BEBC0180
	v_readlane_b32 s82, v3, 14                                 // 00000000B09C: D2890052 00011D03
	s_and_b32 s82, s82, 0xffffff                               // 00000000B0A4: 8652FF52 00FFFFFF
	s_cmp_lt_u32 s82, s66                                      // 00000000B0AC: BF0A4252
	s_cselect_b32 s20, s36, s60                                // 00000000B0B0: 85143C24
	v_readlane_b32 s82, v3, 15                                 // 00000000B0B4: D2890052 00011F03
	s_and_b32 s82, s82, 0xffffff                               // 00000000B0BC: 8652FF52 00FFFFFF
	s_cmp_lt_u32 s82, s66                                      // 00000000B0C4: BF0A4252
	s_cselect_b32 s21, s36, s60                                // 00000000B0C8: 85153C24
	s_mov_b64 exec, s[20:21]                                   // 00000000B0CC: BEFE0114
	global_atomic_add_f32 v6, v89, s[8:9]                      // 00000000B0D0: DD348000 00085906
	s_mov_b64 exec, s[36:37]                                   // 00000000B0D8: BEFE0124
	v_mov_b32_e32 v6, v66                                      // 00000000B0DC: 7E0C0342
	s_mov_b64 s[60:61], 0                                      // 00000000B0E0: BEBC0180
	v_readlane_b32 s82, v3, 16                                 // 00000000B0E4: D2890052 00012103
	s_and_b32 s82, s82, 0xffffff                               // 00000000B0EC: 8652FF52 00FFFFFF
	s_cmp_lt_u32 s82, s66                                      // 00000000B0F4: BF0A4252
	s_cselect_b32 s20, s36, s60                                // 00000000B0F8: 85143C24
	v_readlane_b32 s82, v3, 17                                 // 00000000B0FC: D2890052 00012303
	s_and_b32 s82, s82, 0xffffff                               // 00000000B104: 8652FF52 00FFFFFF
	s_cmp_lt_u32 s82, s66                                      // 00000000B10C: BF0A4252
	s_cselect_b32 s21, s36, s60                                // 00000000B110: 85153C24
	s_mov_b64 exec, s[20:21]                                   // 00000000B114: BEFE0114
	global_atomic_add_f32 v6, v92, s[8:9]                      // 00000000B118: DD348000 00085C06
	s_mov_b64 exec, s[36:37]                                   // 00000000B120: BEFE0124
	v_mov_b32_e32 v6, v67                                      // 00000000B124: 7E0C0343
	s_mov_b64 s[60:61], 0                                      // 00000000B128: BEBC0180
	v_readlane_b32 s82, v3, 18                                 // 00000000B12C: D2890052 00012503
	s_and_b32 s82, s82, 0xffffff                               // 00000000B134: 8652FF52 00FFFFFF
	s_cmp_lt_u32 s82, s66                                      // 00000000B13C: BF0A4252
	s_cselect_b32 s20, s36, s60                                // 00000000B140: 85143C24
	v_readlane_b32 s82, v3, 19                                 // 00000000B144: D2890052 00012703
	s_and_b32 s82, s82, 0xffffff                               // 00000000B14C: 8652FF52 00FFFFFF
	s_cmp_lt_u32 s82, s66                                      // 00000000B154: BF0A4252
	s_cselect_b32 s21, s36, s60                                // 00000000B158: 85153C24
	s_mov_b64 exec, s[20:21]                                   // 00000000B15C: BEFE0114
	global_atomic_add_f32 v6, v93, s[8:9]                      // 00000000B160: DD348000 00085D06
	s_mov_b64 exec, s[36:37]                                   // 00000000B168: BEFE0124
	v_mov_b32_e32 v6, v68                                      // 00000000B16C: 7E0C0344
	s_mov_b64 s[60:61], 0                                      // 00000000B170: BEBC0180
	v_readlane_b32 s82, v3, 20                                 // 00000000B174: D2890052 00012903
	s_and_b32 s82, s82, 0xffffff                               // 00000000B17C: 8652FF52 00FFFFFF
	s_cmp_lt_u32 s82, s66                                      // 00000000B184: BF0A4252
	s_cselect_b32 s20, s36, s60                                // 00000000B188: 85143C24
	v_readlane_b32 s82, v3, 21                                 // 00000000B18C: D2890052 00012B03
	s_and_b32 s82, s82, 0xffffff                               // 00000000B194: 8652FF52 00FFFFFF
	s_cmp_lt_u32 s82, s66                                      // 00000000B19C: BF0A4252
	s_cselect_b32 s21, s36, s60                                // 00000000B1A0: 85153C24
	s_mov_b64 exec, s[20:21]                                   // 00000000B1A4: BEFE0114
	global_atomic_add_f32 v6, v96, s[8:9]                      // 00000000B1A8: DD348000 00086006
	s_mov_b64 exec, s[36:37]                                   // 00000000B1B0: BEFE0124
	v_mov_b32_e32 v6, v69                                      // 00000000B1B4: 7E0C0345
	s_mov_b64 s[60:61], 0                                      // 00000000B1B8: BEBC0180
	v_readlane_b32 s82, v3, 22                                 // 00000000B1BC: D2890052 00012D03
	s_and_b32 s82, s82, 0xffffff                               // 00000000B1C4: 8652FF52 00FFFFFF
	s_cmp_lt_u32 s82, s66                                      // 00000000B1CC: BF0A4252
	s_cselect_b32 s20, s36, s60                                // 00000000B1D0: 85143C24
	v_readlane_b32 s82, v3, 23                                 // 00000000B1D4: D2890052 00012F03
	s_and_b32 s82, s82, 0xffffff                               // 00000000B1DC: 8652FF52 00FFFFFF
	s_cmp_lt_u32 s82, s66                                      // 00000000B1E4: BF0A4252
	s_cselect_b32 s21, s36, s60                                // 00000000B1E8: 85153C24
	s_mov_b64 exec, s[20:21]                                   // 00000000B1EC: BEFE0114
	global_atomic_add_f32 v6, v97, s[8:9]                      // 00000000B1F0: DD348000 00086106
	s_mov_b64 exec, s[36:37]                                   // 00000000B1F8: BEFE0124
	v_mov_b32_e32 v6, v70                                      // 00000000B1FC: 7E0C0346
	s_mov_b64 s[60:61], 0                                      // 00000000B200: BEBC0180
	v_readlane_b32 s82, v3, 24                                 // 00000000B204: D2890052 00013103
	s_and_b32 s82, s82, 0xffffff                               // 00000000B20C: 8652FF52 00FFFFFF
	s_cmp_lt_u32 s82, s66                                      // 00000000B214: BF0A4252
	s_cselect_b32 s20, s36, s60                                // 00000000B218: 85143C24
	v_readlane_b32 s82, v3, 25                                 // 00000000B21C: D2890052 00013303
	s_and_b32 s82, s82, 0xffffff                               // 00000000B224: 8652FF52 00FFFFFF
	s_cmp_lt_u32 s82, s66                                      // 00000000B22C: BF0A4252
	s_cselect_b32 s21, s36, s60                                // 00000000B230: 85153C24
	s_mov_b64 exec, s[20:21]                                   // 00000000B234: BEFE0114
	global_atomic_add_f32 v6, v100, s[8:9]                     // 00000000B238: DD348000 00086406
	s_mov_b64 exec, s[36:37]                                   // 00000000B240: BEFE0124
	v_mov_b32_e32 v6, v71                                      // 00000000B244: 7E0C0347
	s_mov_b64 s[60:61], 0                                      // 00000000B248: BEBC0180
	v_readlane_b32 s82, v3, 26                                 // 00000000B24C: D2890052 00013503
	s_and_b32 s82, s82, 0xffffff                               // 00000000B254: 8652FF52 00FFFFFF
	s_cmp_lt_u32 s82, s66                                      // 00000000B25C: BF0A4252
	s_cselect_b32 s20, s36, s60                                // 00000000B260: 85143C24
	v_readlane_b32 s82, v3, 27                                 // 00000000B264: D2890052 00013703
	s_and_b32 s82, s82, 0xffffff                               // 00000000B26C: 8652FF52 00FFFFFF
	s_cmp_lt_u32 s82, s66                                      // 00000000B274: BF0A4252
	s_cselect_b32 s21, s36, s60                                // 00000000B278: 85153C24
	s_mov_b64 exec, s[20:21]                                   // 00000000B27C: BEFE0114
	global_atomic_add_f32 v6, v101, s[8:9]                     // 00000000B280: DD348000 00086506
	s_mov_b64 exec, s[36:37]                                   // 00000000B288: BEFE0124
	ds_write_b64 v20, v[78:79]                                 // 00000000B28C: D89A0000 00004E14
	ds_write_b64 v20, v[82:83] offset:2176                     // 00000000B294: D89A0880 00005214
	ds_write_b64 v20, v[86:87] offset:4352                     // 00000000B29C: D89A1100 00005614
	ds_write_b64 v20, v[90:91] offset:6528                     // 00000000B2A4: D89A1980 00005A14
	ds_write_b64 v20, v[94:95] offset:8704                     // 00000000B2AC: D89A2200 00005E14
	ds_write_b64 v20, v[98:99] offset:10880                    // 00000000B2B4: D89A2A80 00006214
	ds_write_b64 v20, v[102:103] offset:13056                  // 00000000B2BC: D89A3300 00006614
	s_waitcnt lgkmcnt(0)                                       // 00000000B2C4: BF8CC07F
	s_barrier                                                  // 00000000B2C8: BF8A0000
	ds_read_b32 v78, v21                                       // 00000000B2CC: D86C0000 4E000015
	ds_read_b32 v79, v21 offset:64                             // 00000000B2D4: D86C0040 4F000015
	ds_read_b32 v82, v21 offset:2176                           // 00000000B2DC: D86C0880 52000015
	ds_read_b32 v83, v21 offset:2240                           // 00000000B2E4: D86C08C0 53000015
	ds_read_b32 v86, v21 offset:4352                           // 00000000B2EC: D86C1100 56000015
	ds_read_b32 v87, v21 offset:4416                           // 00000000B2F4: D86C1140 57000015
	ds_read_b32 v90, v21 offset:6528                           // 00000000B2FC: D86C1980 5A000015
	ds_read_b32 v91, v21 offset:6592                           // 00000000B304: D86C19C0 5B000015
	ds_read_b32 v94, v21 offset:8704                           // 00000000B30C: D86C2200 5E000015
	ds_read_b32 v95, v21 offset:8768                           // 00000000B314: D86C2240 5F000015
	ds_read_b32 v98, v21 offset:10880                          // 00000000B31C: D86C2A80 62000015
	ds_read_b32 v99, v21 offset:10944                          // 00000000B324: D86C2AC0 63000015
	ds_read_b32 v102, v21 offset:13056                         // 00000000B32C: D86C3300 66000015
	ds_read_b32 v103, v21 offset:13120                         // 00000000B334: D86C3340 67000015
	s_waitcnt lgkmcnt(0)                                       // 00000000B33C: BF8CC07F
	v_mov_b32_e32 v7, 0                                        // 00000000B340: 7E0E0280
	s_mov_b64 exec, s[36:37]                                   // 00000000B344: BEFE0124
	v_mov_b32_e32 v6, v58                                      // 00000000B348: 7E0C033A
	s_mov_b64 s[60:61], 0                                      // 00000000B34C: BEBC0180
	v_readlane_b32 s82, v3, 0                                  // 00000000B350: D2890052 00010103
	s_and_b32 s82, s82, 0xffffff                               // 00000000B358: 8652FF52 00FFFFFF
	s_cmp_lt_u32 s82, s66                                      // 00000000B360: BF0A4252
	s_cselect_b32 s20, s36, s60                                // 00000000B364: 85143C24
	v_readlane_b32 s82, v3, 1                                  // 00000000B368: D2890052 00010303
	s_and_b32 s82, s82, 0xffffff                               // 00000000B370: 8652FF52 00FFFFFF
	s_cmp_lt_u32 s82, s66                                      // 00000000B378: BF0A4252
	s_cselect_b32 s21, s36, s60                                // 00000000B37C: 85153C24
	s_mov_b64 exec, s[20:21]                                   // 00000000B380: BEFE0114
	global_atomic_add_f32 v6, v78, s[8:9] offset:8             // 00000000B384: DD348008 00084E06
	s_mov_b64 exec, s[36:37]                                   // 00000000B38C: BEFE0124
	v_mov_b32_e32 v6, v59                                      // 00000000B390: 7E0C033B
	s_mov_b64 s[60:61], 0                                      // 00000000B394: BEBC0180
	v_readlane_b32 s82, v3, 2                                  // 00000000B398: D2890052 00010503
	s_and_b32 s82, s82, 0xffffff                               // 00000000B3A0: 8652FF52 00FFFFFF
	s_cmp_lt_u32 s82, s66                                      // 00000000B3A8: BF0A4252
	s_cselect_b32 s20, s36, s60                                // 00000000B3AC: 85143C24
	v_readlane_b32 s82, v3, 3                                  // 00000000B3B0: D2890052 00010703
	s_and_b32 s82, s82, 0xffffff                               // 00000000B3B8: 8652FF52 00FFFFFF
	s_cmp_lt_u32 s82, s66                                      // 00000000B3C0: BF0A4252
	s_cselect_b32 s21, s36, s60                                // 00000000B3C4: 85153C24
	s_mov_b64 exec, s[20:21]                                   // 00000000B3C8: BEFE0114
	global_atomic_add_f32 v6, v79, s[8:9] offset:8             // 00000000B3CC: DD348008 00084F06
	s_mov_b64 exec, s[36:37]                                   // 00000000B3D4: BEFE0124
	v_mov_b32_e32 v6, v60                                      // 00000000B3D8: 7E0C033C
	s_mov_b64 s[60:61], 0                                      // 00000000B3DC: BEBC0180
	v_readlane_b32 s82, v3, 4                                  // 00000000B3E0: D2890052 00010903
	s_and_b32 s82, s82, 0xffffff                               // 00000000B3E8: 8652FF52 00FFFFFF
	s_cmp_lt_u32 s82, s66                                      // 00000000B3F0: BF0A4252
	s_cselect_b32 s20, s36, s60                                // 00000000B3F4: 85143C24
	v_readlane_b32 s82, v3, 5                                  // 00000000B3F8: D2890052 00010B03
	s_and_b32 s82, s82, 0xffffff                               // 00000000B400: 8652FF52 00FFFFFF
	s_cmp_lt_u32 s82, s66                                      // 00000000B408: BF0A4252
	s_cselect_b32 s21, s36, s60                                // 00000000B40C: 85153C24
	s_mov_b64 exec, s[20:21]                                   // 00000000B410: BEFE0114
	global_atomic_add_f32 v6, v82, s[8:9] offset:8             // 00000000B414: DD348008 00085206
	s_mov_b64 exec, s[36:37]                                   // 00000000B41C: BEFE0124
	v_mov_b32_e32 v6, v61                                      // 00000000B420: 7E0C033D
	s_mov_b64 s[60:61], 0                                      // 00000000B424: BEBC0180
	v_readlane_b32 s82, v3, 6                                  // 00000000B428: D2890052 00010D03
	s_and_b32 s82, s82, 0xffffff                               // 00000000B430: 8652FF52 00FFFFFF
	s_cmp_lt_u32 s82, s66                                      // 00000000B438: BF0A4252
	s_cselect_b32 s20, s36, s60                                // 00000000B43C: 85143C24
	v_readlane_b32 s82, v3, 7                                  // 00000000B440: D2890052 00010F03
	s_and_b32 s82, s82, 0xffffff                               // 00000000B448: 8652FF52 00FFFFFF
	s_cmp_lt_u32 s82, s66                                      // 00000000B450: BF0A4252
	s_cselect_b32 s21, s36, s60                                // 00000000B454: 85153C24
	s_mov_b64 exec, s[20:21]                                   // 00000000B458: BEFE0114
	global_atomic_add_f32 v6, v83, s[8:9] offset:8             // 00000000B45C: DD348008 00085306
	s_mov_b64 exec, s[36:37]                                   // 00000000B464: BEFE0124
	v_mov_b32_e32 v6, v62                                      // 00000000B468: 7E0C033E
	s_mov_b64 s[60:61], 0                                      // 00000000B46C: BEBC0180
	v_readlane_b32 s82, v3, 8                                  // 00000000B470: D2890052 00011103
	s_and_b32 s82, s82, 0xffffff                               // 00000000B478: 8652FF52 00FFFFFF
	s_cmp_lt_u32 s82, s66                                      // 00000000B480: BF0A4252
	s_cselect_b32 s20, s36, s60                                // 00000000B484: 85143C24
	v_readlane_b32 s82, v3, 9                                  // 00000000B488: D2890052 00011303
	s_and_b32 s82, s82, 0xffffff                               // 00000000B490: 8652FF52 00FFFFFF
	s_cmp_lt_u32 s82, s66                                      // 00000000B498: BF0A4252
	s_cselect_b32 s21, s36, s60                                // 00000000B49C: 85153C24
	s_mov_b64 exec, s[20:21]                                   // 00000000B4A0: BEFE0114
	global_atomic_add_f32 v6, v86, s[8:9] offset:8             // 00000000B4A4: DD348008 00085606
	s_mov_b64 exec, s[36:37]                                   // 00000000B4AC: BEFE0124
	v_mov_b32_e32 v6, v63                                      // 00000000B4B0: 7E0C033F
	s_mov_b64 s[60:61], 0                                      // 00000000B4B4: BEBC0180
	v_readlane_b32 s82, v3, 10                                 // 00000000B4B8: D2890052 00011503
	s_and_b32 s82, s82, 0xffffff                               // 00000000B4C0: 8652FF52 00FFFFFF
	s_cmp_lt_u32 s82, s66                                      // 00000000B4C8: BF0A4252
	s_cselect_b32 s20, s36, s60                                // 00000000B4CC: 85143C24
	v_readlane_b32 s82, v3, 11                                 // 00000000B4D0: D2890052 00011703
	s_and_b32 s82, s82, 0xffffff                               // 00000000B4D8: 8652FF52 00FFFFFF
	s_cmp_lt_u32 s82, s66                                      // 00000000B4E0: BF0A4252
	s_cselect_b32 s21, s36, s60                                // 00000000B4E4: 85153C24
	s_mov_b64 exec, s[20:21]                                   // 00000000B4E8: BEFE0114
	global_atomic_add_f32 v6, v87, s[8:9] offset:8             // 00000000B4EC: DD348008 00085706
	s_mov_b64 exec, s[36:37]                                   // 00000000B4F4: BEFE0124
	v_mov_b32_e32 v6, v64                                      // 00000000B4F8: 7E0C0340
	s_mov_b64 s[60:61], 0                                      // 00000000B4FC: BEBC0180
	v_readlane_b32 s82, v3, 12                                 // 00000000B500: D2890052 00011903
	s_and_b32 s82, s82, 0xffffff                               // 00000000B508: 8652FF52 00FFFFFF
	s_cmp_lt_u32 s82, s66                                      // 00000000B510: BF0A4252
	s_cselect_b32 s20, s36, s60                                // 00000000B514: 85143C24
	v_readlane_b32 s82, v3, 13                                 // 00000000B518: D2890052 00011B03
	s_and_b32 s82, s82, 0xffffff                               // 00000000B520: 8652FF52 00FFFFFF
	s_cmp_lt_u32 s82, s66                                      // 00000000B528: BF0A4252
	s_cselect_b32 s21, s36, s60                                // 00000000B52C: 85153C24
	s_mov_b64 exec, s[20:21]                                   // 00000000B530: BEFE0114
	global_atomic_add_f32 v6, v90, s[8:9] offset:8             // 00000000B534: DD348008 00085A06
	s_mov_b64 exec, s[36:37]                                   // 00000000B53C: BEFE0124
	v_mov_b32_e32 v6, v65                                      // 00000000B540: 7E0C0341
	s_mov_b64 s[60:61], 0                                      // 00000000B544: BEBC0180
	v_readlane_b32 s82, v3, 14                                 // 00000000B548: D2890052 00011D03
	s_and_b32 s82, s82, 0xffffff                               // 00000000B550: 8652FF52 00FFFFFF
	s_cmp_lt_u32 s82, s66                                      // 00000000B558: BF0A4252
	s_cselect_b32 s20, s36, s60                                // 00000000B55C: 85143C24
	v_readlane_b32 s82, v3, 15                                 // 00000000B560: D2890052 00011F03
	s_and_b32 s82, s82, 0xffffff                               // 00000000B568: 8652FF52 00FFFFFF
	s_cmp_lt_u32 s82, s66                                      // 00000000B570: BF0A4252
	s_cselect_b32 s21, s36, s60                                // 00000000B574: 85153C24
	s_mov_b64 exec, s[20:21]                                   // 00000000B578: BEFE0114
	global_atomic_add_f32 v6, v91, s[8:9] offset:8             // 00000000B57C: DD348008 00085B06
	s_mov_b64 exec, s[36:37]                                   // 00000000B584: BEFE0124
	v_mov_b32_e32 v6, v66                                      // 00000000B588: 7E0C0342
	s_mov_b64 s[60:61], 0                                      // 00000000B58C: BEBC0180
	v_readlane_b32 s82, v3, 16                                 // 00000000B590: D2890052 00012103
	s_and_b32 s82, s82, 0xffffff                               // 00000000B598: 8652FF52 00FFFFFF
	s_cmp_lt_u32 s82, s66                                      // 00000000B5A0: BF0A4252
	s_cselect_b32 s20, s36, s60                                // 00000000B5A4: 85143C24
	v_readlane_b32 s82, v3, 17                                 // 00000000B5A8: D2890052 00012303
	s_and_b32 s82, s82, 0xffffff                               // 00000000B5B0: 8652FF52 00FFFFFF
	s_cmp_lt_u32 s82, s66                                      // 00000000B5B8: BF0A4252
	s_cselect_b32 s21, s36, s60                                // 00000000B5BC: 85153C24
	s_mov_b64 exec, s[20:21]                                   // 00000000B5C0: BEFE0114
	global_atomic_add_f32 v6, v94, s[8:9] offset:8             // 00000000B5C4: DD348008 00085E06
	s_mov_b64 exec, s[36:37]                                   // 00000000B5CC: BEFE0124
	v_mov_b32_e32 v6, v67                                      // 00000000B5D0: 7E0C0343
	s_mov_b64 s[60:61], 0                                      // 00000000B5D4: BEBC0180
	v_readlane_b32 s82, v3, 18                                 // 00000000B5D8: D2890052 00012503
	s_and_b32 s82, s82, 0xffffff                               // 00000000B5E0: 8652FF52 00FFFFFF
	s_cmp_lt_u32 s82, s66                                      // 00000000B5E8: BF0A4252
	s_cselect_b32 s20, s36, s60                                // 00000000B5EC: 85143C24
	v_readlane_b32 s82, v3, 19                                 // 00000000B5F0: D2890052 00012703
	s_and_b32 s82, s82, 0xffffff                               // 00000000B5F8: 8652FF52 00FFFFFF
	s_cmp_lt_u32 s82, s66                                      // 00000000B600: BF0A4252
	s_cselect_b32 s21, s36, s60                                // 00000000B604: 85153C24
	s_mov_b64 exec, s[20:21]                                   // 00000000B608: BEFE0114
	global_atomic_add_f32 v6, v95, s[8:9] offset:8             // 00000000B60C: DD348008 00085F06
	s_mov_b64 exec, s[36:37]                                   // 00000000B614: BEFE0124
	v_mov_b32_e32 v6, v68                                      // 00000000B618: 7E0C0344
	s_mov_b64 s[60:61], 0                                      // 00000000B61C: BEBC0180
	v_readlane_b32 s82, v3, 20                                 // 00000000B620: D2890052 00012903
	s_and_b32 s82, s82, 0xffffff                               // 00000000B628: 8652FF52 00FFFFFF
	s_cmp_lt_u32 s82, s66                                      // 00000000B630: BF0A4252
	s_cselect_b32 s20, s36, s60                                // 00000000B634: 85143C24
	v_readlane_b32 s82, v3, 21                                 // 00000000B638: D2890052 00012B03
	s_and_b32 s82, s82, 0xffffff                               // 00000000B640: 8652FF52 00FFFFFF
	s_cmp_lt_u32 s82, s66                                      // 00000000B648: BF0A4252
	s_cselect_b32 s21, s36, s60                                // 00000000B64C: 85153C24
	s_mov_b64 exec, s[20:21]                                   // 00000000B650: BEFE0114
	global_atomic_add_f32 v6, v98, s[8:9] offset:8             // 00000000B654: DD348008 00086206
	s_mov_b64 exec, s[36:37]                                   // 00000000B65C: BEFE0124
	v_mov_b32_e32 v6, v69                                      // 00000000B660: 7E0C0345
	s_mov_b64 s[60:61], 0                                      // 00000000B664: BEBC0180
	v_readlane_b32 s82, v3, 22                                 // 00000000B668: D2890052 00012D03
	s_and_b32 s82, s82, 0xffffff                               // 00000000B670: 8652FF52 00FFFFFF
	s_cmp_lt_u32 s82, s66                                      // 00000000B678: BF0A4252
	s_cselect_b32 s20, s36, s60                                // 00000000B67C: 85143C24
	v_readlane_b32 s82, v3, 23                                 // 00000000B680: D2890052 00012F03
	s_and_b32 s82, s82, 0xffffff                               // 00000000B688: 8652FF52 00FFFFFF
	s_cmp_lt_u32 s82, s66                                      // 00000000B690: BF0A4252
	s_cselect_b32 s21, s36, s60                                // 00000000B694: 85153C24
	s_mov_b64 exec, s[20:21]                                   // 00000000B698: BEFE0114
	global_atomic_add_f32 v6, v99, s[8:9] offset:8             // 00000000B69C: DD348008 00086306
	s_mov_b64 exec, s[36:37]                                   // 00000000B6A4: BEFE0124
	v_mov_b32_e32 v6, v70                                      // 00000000B6A8: 7E0C0346
	s_mov_b64 s[60:61], 0                                      // 00000000B6AC: BEBC0180
	v_readlane_b32 s82, v3, 24                                 // 00000000B6B0: D2890052 00013103
	s_and_b32 s82, s82, 0xffffff                               // 00000000B6B8: 8652FF52 00FFFFFF
	s_cmp_lt_u32 s82, s66                                      // 00000000B6C0: BF0A4252
	s_cselect_b32 s20, s36, s60                                // 00000000B6C4: 85143C24
	v_readlane_b32 s82, v3, 25                                 // 00000000B6C8: D2890052 00013303
	s_and_b32 s82, s82, 0xffffff                               // 00000000B6D0: 8652FF52 00FFFFFF
	s_cmp_lt_u32 s82, s66                                      // 00000000B6D8: BF0A4252
	s_cselect_b32 s21, s36, s60                                // 00000000B6DC: 85153C24
	s_mov_b64 exec, s[20:21]                                   // 00000000B6E0: BEFE0114
	global_atomic_add_f32 v6, v102, s[8:9] offset:8            // 00000000B6E4: DD348008 00086606
	s_mov_b64 exec, s[36:37]                                   // 00000000B6EC: BEFE0124
	v_mov_b32_e32 v6, v71                                      // 00000000B6F0: 7E0C0347
	s_mov_b64 s[60:61], 0                                      // 00000000B6F4: BEBC0180
	v_readlane_b32 s82, v3, 26                                 // 00000000B6F8: D2890052 00013503
	s_and_b32 s82, s82, 0xffffff                               // 00000000B700: 8652FF52 00FFFFFF
	s_cmp_lt_u32 s82, s66                                      // 00000000B708: BF0A4252
	s_cselect_b32 s20, s36, s60                                // 00000000B70C: 85143C24
	v_readlane_b32 s82, v3, 27                                 // 00000000B710: D2890052 00013703
	s_and_b32 s82, s82, 0xffffff                               // 00000000B718: 8652FF52 00FFFFFF
	s_cmp_lt_u32 s82, s66                                      // 00000000B720: BF0A4252
	s_cselect_b32 s21, s36, s60                                // 00000000B724: 85153C24
	s_mov_b64 exec, s[20:21]                                   // 00000000B728: BEFE0114
	global_atomic_add_f32 v6, v103, s[8:9] offset:8            // 00000000B72C: DD348008 00086706
	s_mov_b64 exec, s[36:37]                                   // 00000000B734: BEFE0124
	ds_write_b64 v20, v[104:105]                               // 00000000B738: D89A0000 00006814
	ds_write_b64 v20, v[108:109] offset:2176                   // 00000000B740: D89A0880 00006C14
	ds_write_b64 v20, v[112:113] offset:4352                   // 00000000B748: D89A1100 00007014
	ds_write_b64 v20, v[116:117] offset:6528                   // 00000000B750: D89A1980 00007414
	ds_write_b64 v20, v[120:121] offset:8704                   // 00000000B758: D89A2200 00007814
	ds_write_b64 v20, v[124:125] offset:10880                  // 00000000B760: D89A2A80 00007C14
	ds_write_b64 v20, v[128:129] offset:13056                  // 00000000B768: D89A3300 00008014
	s_waitcnt lgkmcnt(0)                                       // 00000000B770: BF8CC07F
	s_barrier                                                  // 00000000B774: BF8A0000
	ds_read_b32 v104, v21                                      // 00000000B778: D86C0000 68000015
	ds_read_b32 v105, v21 offset:64                            // 00000000B780: D86C0040 69000015
	ds_read_b32 v108, v21 offset:2176                          // 00000000B788: D86C0880 6C000015
	ds_read_b32 v109, v21 offset:2240                          // 00000000B790: D86C08C0 6D000015
	ds_read_b32 v112, v21 offset:4352                          // 00000000B798: D86C1100 70000015
	ds_read_b32 v113, v21 offset:4416                          // 00000000B7A0: D86C1140 71000015
	ds_read_b32 v116, v21 offset:6528                          // 00000000B7A8: D86C1980 74000015
	ds_read_b32 v117, v21 offset:6592                          // 00000000B7B0: D86C19C0 75000015
	ds_read_b32 v120, v21 offset:8704                          // 00000000B7B8: D86C2200 78000015
	ds_read_b32 v121, v21 offset:8768                          // 00000000B7C0: D86C2240 79000015
	ds_read_b32 v124, v21 offset:10880                         // 00000000B7C8: D86C2A80 7C000015
	ds_read_b32 v125, v21 offset:10944                         // 00000000B7D0: D86C2AC0 7D000015
	ds_read_b32 v128, v21 offset:13056                         // 00000000B7D8: D86C3300 80000015
	ds_read_b32 v129, v21 offset:13120                         // 00000000B7E0: D86C3340 81000015
	s_mul_i32 s60, s65, 4                                      // 00000000B7E8: 923C8441
	s_add_u32 s8, s60, s8                                      // 00000000B7EC: 8008083C
	s_addc_u32 s9, 0, s9                                       // 00000000B7F0: 82090980
	s_waitcnt lgkmcnt(0)                                       // 00000000B7F4: BF8CC07F
	v_mov_b32_e32 v7, 0                                        // 00000000B7F8: 7E0E0280
	s_mov_b64 exec, s[36:37]                                   // 00000000B7FC: BEFE0124
	v_mov_b32_e32 v6, v58                                      // 00000000B800: 7E0C033A
	s_mov_b64 s[60:61], 0                                      // 00000000B804: BEBC0180
	v_readlane_b32 s82, v3, 0                                  // 00000000B808: D2890052 00010103
	s_and_b32 s82, s82, 0xffffff                               // 00000000B810: 8652FF52 00FFFFFF
	s_cmp_lt_u32 s82, s66                                      // 00000000B818: BF0A4252
	s_cselect_b32 s20, s36, s60                                // 00000000B81C: 85143C24
	v_readlane_b32 s82, v3, 1                                  // 00000000B820: D2890052 00010303
	s_and_b32 s82, s82, 0xffffff                               // 00000000B828: 8652FF52 00FFFFFF
	s_cmp_lt_u32 s82, s66                                      // 00000000B830: BF0A4252
	s_cselect_b32 s21, s36, s60                                // 00000000B834: 85153C24
	s_mov_b64 exec, s[20:21]                                   // 00000000B838: BEFE0114
	global_atomic_add_f32 v6, v104, s[8:9]                     // 00000000B83C: DD348000 00086806
	s_mov_b64 exec, s[36:37]                                   // 00000000B844: BEFE0124
	v_mov_b32_e32 v6, v59                                      // 00000000B848: 7E0C033B
	s_mov_b64 s[60:61], 0                                      // 00000000B84C: BEBC0180
	v_readlane_b32 s82, v3, 2                                  // 00000000B850: D2890052 00010503
	s_and_b32 s82, s82, 0xffffff                               // 00000000B858: 8652FF52 00FFFFFF
	s_cmp_lt_u32 s82, s66                                      // 00000000B860: BF0A4252
	s_cselect_b32 s20, s36, s60                                // 00000000B864: 85143C24
	v_readlane_b32 s82, v3, 3                                  // 00000000B868: D2890052 00010703
	s_and_b32 s82, s82, 0xffffff                               // 00000000B870: 8652FF52 00FFFFFF
	s_cmp_lt_u32 s82, s66                                      // 00000000B878: BF0A4252
	s_cselect_b32 s21, s36, s60                                // 00000000B87C: 85153C24
	s_mov_b64 exec, s[20:21]                                   // 00000000B880: BEFE0114
	global_atomic_add_f32 v6, v105, s[8:9]                     // 00000000B884: DD348000 00086906
	s_mov_b64 exec, s[36:37]                                   // 00000000B88C: BEFE0124
	v_mov_b32_e32 v6, v60                                      // 00000000B890: 7E0C033C
	s_mov_b64 s[60:61], 0                                      // 00000000B894: BEBC0180
	v_readlane_b32 s82, v3, 4                                  // 00000000B898: D2890052 00010903
	s_and_b32 s82, s82, 0xffffff                               // 00000000B8A0: 8652FF52 00FFFFFF
	s_cmp_lt_u32 s82, s66                                      // 00000000B8A8: BF0A4252
	s_cselect_b32 s20, s36, s60                                // 00000000B8AC: 85143C24
	v_readlane_b32 s82, v3, 5                                  // 00000000B8B0: D2890052 00010B03
	s_and_b32 s82, s82, 0xffffff                               // 00000000B8B8: 8652FF52 00FFFFFF
	s_cmp_lt_u32 s82, s66                                      // 00000000B8C0: BF0A4252
	s_cselect_b32 s21, s36, s60                                // 00000000B8C4: 85153C24
	s_mov_b64 exec, s[20:21]                                   // 00000000B8C8: BEFE0114
	global_atomic_add_f32 v6, v108, s[8:9]                     // 00000000B8CC: DD348000 00086C06
	s_mov_b64 exec, s[36:37]                                   // 00000000B8D4: BEFE0124
	v_mov_b32_e32 v6, v61                                      // 00000000B8D8: 7E0C033D
	s_mov_b64 s[60:61], 0                                      // 00000000B8DC: BEBC0180
	v_readlane_b32 s82, v3, 6                                  // 00000000B8E0: D2890052 00010D03
	s_and_b32 s82, s82, 0xffffff                               // 00000000B8E8: 8652FF52 00FFFFFF
	s_cmp_lt_u32 s82, s66                                      // 00000000B8F0: BF0A4252
	s_cselect_b32 s20, s36, s60                                // 00000000B8F4: 85143C24
	v_readlane_b32 s82, v3, 7                                  // 00000000B8F8: D2890052 00010F03
	s_and_b32 s82, s82, 0xffffff                               // 00000000B900: 8652FF52 00FFFFFF
	s_cmp_lt_u32 s82, s66                                      // 00000000B908: BF0A4252
	s_cselect_b32 s21, s36, s60                                // 00000000B90C: 85153C24
	s_mov_b64 exec, s[20:21]                                   // 00000000B910: BEFE0114
	global_atomic_add_f32 v6, v109, s[8:9]                     // 00000000B914: DD348000 00086D06
	s_mov_b64 exec, s[36:37]                                   // 00000000B91C: BEFE0124
	v_mov_b32_e32 v6, v62                                      // 00000000B920: 7E0C033E
	s_mov_b64 s[60:61], 0                                      // 00000000B924: BEBC0180
	v_readlane_b32 s82, v3, 8                                  // 00000000B928: D2890052 00011103
	s_and_b32 s82, s82, 0xffffff                               // 00000000B930: 8652FF52 00FFFFFF
	s_cmp_lt_u32 s82, s66                                      // 00000000B938: BF0A4252
	s_cselect_b32 s20, s36, s60                                // 00000000B93C: 85143C24
	v_readlane_b32 s82, v3, 9                                  // 00000000B940: D2890052 00011303
	s_and_b32 s82, s82, 0xffffff                               // 00000000B948: 8652FF52 00FFFFFF
	s_cmp_lt_u32 s82, s66                                      // 00000000B950: BF0A4252
	s_cselect_b32 s21, s36, s60                                // 00000000B954: 85153C24
	s_mov_b64 exec, s[20:21]                                   // 00000000B958: BEFE0114
	global_atomic_add_f32 v6, v112, s[8:9]                     // 00000000B95C: DD348000 00087006
	s_mov_b64 exec, s[36:37]                                   // 00000000B964: BEFE0124
	v_mov_b32_e32 v6, v63                                      // 00000000B968: 7E0C033F
	s_mov_b64 s[60:61], 0                                      // 00000000B96C: BEBC0180
	v_readlane_b32 s82, v3, 10                                 // 00000000B970: D2890052 00011503
	s_and_b32 s82, s82, 0xffffff                               // 00000000B978: 8652FF52 00FFFFFF
	s_cmp_lt_u32 s82, s66                                      // 00000000B980: BF0A4252
	s_cselect_b32 s20, s36, s60                                // 00000000B984: 85143C24
	v_readlane_b32 s82, v3, 11                                 // 00000000B988: D2890052 00011703
	s_and_b32 s82, s82, 0xffffff                               // 00000000B990: 8652FF52 00FFFFFF
	s_cmp_lt_u32 s82, s66                                      // 00000000B998: BF0A4252
	s_cselect_b32 s21, s36, s60                                // 00000000B99C: 85153C24
	s_mov_b64 exec, s[20:21]                                   // 00000000B9A0: BEFE0114
	global_atomic_add_f32 v6, v113, s[8:9]                     // 00000000B9A4: DD348000 00087106
	s_mov_b64 exec, s[36:37]                                   // 00000000B9AC: BEFE0124
	v_mov_b32_e32 v6, v64                                      // 00000000B9B0: 7E0C0340
	s_mov_b64 s[60:61], 0                                      // 00000000B9B4: BEBC0180
	v_readlane_b32 s82, v3, 12                                 // 00000000B9B8: D2890052 00011903
	s_and_b32 s82, s82, 0xffffff                               // 00000000B9C0: 8652FF52 00FFFFFF
	s_cmp_lt_u32 s82, s66                                      // 00000000B9C8: BF0A4252
	s_cselect_b32 s20, s36, s60                                // 00000000B9CC: 85143C24
	v_readlane_b32 s82, v3, 13                                 // 00000000B9D0: D2890052 00011B03
	s_and_b32 s82, s82, 0xffffff                               // 00000000B9D8: 8652FF52 00FFFFFF
	s_cmp_lt_u32 s82, s66                                      // 00000000B9E0: BF0A4252
	s_cselect_b32 s21, s36, s60                                // 00000000B9E4: 85153C24
	s_mov_b64 exec, s[20:21]                                   // 00000000B9E8: BEFE0114
	global_atomic_add_f32 v6, v116, s[8:9]                     // 00000000B9EC: DD348000 00087406
	s_mov_b64 exec, s[36:37]                                   // 00000000B9F4: BEFE0124
	v_mov_b32_e32 v6, v65                                      // 00000000B9F8: 7E0C0341
	s_mov_b64 s[60:61], 0                                      // 00000000B9FC: BEBC0180
	v_readlane_b32 s82, v3, 14                                 // 00000000BA00: D2890052 00011D03
	s_and_b32 s82, s82, 0xffffff                               // 00000000BA08: 8652FF52 00FFFFFF
	s_cmp_lt_u32 s82, s66                                      // 00000000BA10: BF0A4252
	s_cselect_b32 s20, s36, s60                                // 00000000BA14: 85143C24
	v_readlane_b32 s82, v3, 15                                 // 00000000BA18: D2890052 00011F03
	s_and_b32 s82, s82, 0xffffff                               // 00000000BA20: 8652FF52 00FFFFFF
	s_cmp_lt_u32 s82, s66                                      // 00000000BA28: BF0A4252
	s_cselect_b32 s21, s36, s60                                // 00000000BA2C: 85153C24
	s_mov_b64 exec, s[20:21]                                   // 00000000BA30: BEFE0114
	global_atomic_add_f32 v6, v117, s[8:9]                     // 00000000BA34: DD348000 00087506
	s_mov_b64 exec, s[36:37]                                   // 00000000BA3C: BEFE0124
	v_mov_b32_e32 v6, v66                                      // 00000000BA40: 7E0C0342
	s_mov_b64 s[60:61], 0                                      // 00000000BA44: BEBC0180
	v_readlane_b32 s82, v3, 16                                 // 00000000BA48: D2890052 00012103
	s_and_b32 s82, s82, 0xffffff                               // 00000000BA50: 8652FF52 00FFFFFF
	s_cmp_lt_u32 s82, s66                                      // 00000000BA58: BF0A4252
	s_cselect_b32 s20, s36, s60                                // 00000000BA5C: 85143C24
	v_readlane_b32 s82, v3, 17                                 // 00000000BA60: D2890052 00012303
	s_and_b32 s82, s82, 0xffffff                               // 00000000BA68: 8652FF52 00FFFFFF
	s_cmp_lt_u32 s82, s66                                      // 00000000BA70: BF0A4252
	s_cselect_b32 s21, s36, s60                                // 00000000BA74: 85153C24
	s_mov_b64 exec, s[20:21]                                   // 00000000BA78: BEFE0114
	global_atomic_add_f32 v6, v120, s[8:9]                     // 00000000BA7C: DD348000 00087806
	s_mov_b64 exec, s[36:37]                                   // 00000000BA84: BEFE0124
	v_mov_b32_e32 v6, v67                                      // 00000000BA88: 7E0C0343
	s_mov_b64 s[60:61], 0                                      // 00000000BA8C: BEBC0180
	v_readlane_b32 s82, v3, 18                                 // 00000000BA90: D2890052 00012503
	s_and_b32 s82, s82, 0xffffff                               // 00000000BA98: 8652FF52 00FFFFFF
	s_cmp_lt_u32 s82, s66                                      // 00000000BAA0: BF0A4252
	s_cselect_b32 s20, s36, s60                                // 00000000BAA4: 85143C24
	v_readlane_b32 s82, v3, 19                                 // 00000000BAA8: D2890052 00012703
	s_and_b32 s82, s82, 0xffffff                               // 00000000BAB0: 8652FF52 00FFFFFF
	s_cmp_lt_u32 s82, s66                                      // 00000000BAB8: BF0A4252
	s_cselect_b32 s21, s36, s60                                // 00000000BABC: 85153C24
	s_mov_b64 exec, s[20:21]                                   // 00000000BAC0: BEFE0114
	global_atomic_add_f32 v6, v121, s[8:9]                     // 00000000BAC4: DD348000 00087906
	s_mov_b64 exec, s[36:37]                                   // 00000000BACC: BEFE0124
	v_mov_b32_e32 v6, v68                                      // 00000000BAD0: 7E0C0344
	s_mov_b64 s[60:61], 0                                      // 00000000BAD4: BEBC0180
	v_readlane_b32 s82, v3, 20                                 // 00000000BAD8: D2890052 00012903
	s_and_b32 s82, s82, 0xffffff                               // 00000000BAE0: 8652FF52 00FFFFFF
	s_cmp_lt_u32 s82, s66                                      // 00000000BAE8: BF0A4252
	s_cselect_b32 s20, s36, s60                                // 00000000BAEC: 85143C24
	v_readlane_b32 s82, v3, 21                                 // 00000000BAF0: D2890052 00012B03
	s_and_b32 s82, s82, 0xffffff                               // 00000000BAF8: 8652FF52 00FFFFFF
	s_cmp_lt_u32 s82, s66                                      // 00000000BB00: BF0A4252
	s_cselect_b32 s21, s36, s60                                // 00000000BB04: 85153C24
	s_mov_b64 exec, s[20:21]                                   // 00000000BB08: BEFE0114
	global_atomic_add_f32 v6, v124, s[8:9]                     // 00000000BB0C: DD348000 00087C06
	s_mov_b64 exec, s[36:37]                                   // 00000000BB14: BEFE0124
	v_mov_b32_e32 v6, v69                                      // 00000000BB18: 7E0C0345
	s_mov_b64 s[60:61], 0                                      // 00000000BB1C: BEBC0180
	v_readlane_b32 s82, v3, 22                                 // 00000000BB20: D2890052 00012D03
	s_and_b32 s82, s82, 0xffffff                               // 00000000BB28: 8652FF52 00FFFFFF
	s_cmp_lt_u32 s82, s66                                      // 00000000BB30: BF0A4252
	s_cselect_b32 s20, s36, s60                                // 00000000BB34: 85143C24
	v_readlane_b32 s82, v3, 23                                 // 00000000BB38: D2890052 00012F03
	s_and_b32 s82, s82, 0xffffff                               // 00000000BB40: 8652FF52 00FFFFFF
	s_cmp_lt_u32 s82, s66                                      // 00000000BB48: BF0A4252
	s_cselect_b32 s21, s36, s60                                // 00000000BB4C: 85153C24
	s_mov_b64 exec, s[20:21]                                   // 00000000BB50: BEFE0114
	global_atomic_add_f32 v6, v125, s[8:9]                     // 00000000BB54: DD348000 00087D06
	s_mov_b64 exec, s[36:37]                                   // 00000000BB5C: BEFE0124
	v_mov_b32_e32 v6, v70                                      // 00000000BB60: 7E0C0346
	s_mov_b64 s[60:61], 0                                      // 00000000BB64: BEBC0180
	v_readlane_b32 s82, v3, 24                                 // 00000000BB68: D2890052 00013103
	s_and_b32 s82, s82, 0xffffff                               // 00000000BB70: 8652FF52 00FFFFFF
	s_cmp_lt_u32 s82, s66                                      // 00000000BB78: BF0A4252
	s_cselect_b32 s20, s36, s60                                // 00000000BB7C: 85143C24
	v_readlane_b32 s82, v3, 25                                 // 00000000BB80: D2890052 00013303
	s_and_b32 s82, s82, 0xffffff                               // 00000000BB88: 8652FF52 00FFFFFF
	s_cmp_lt_u32 s82, s66                                      // 00000000BB90: BF0A4252
	s_cselect_b32 s21, s36, s60                                // 00000000BB94: 85153C24
	s_mov_b64 exec, s[20:21]                                   // 00000000BB98: BEFE0114
	global_atomic_add_f32 v6, v128, s[8:9]                     // 00000000BB9C: DD348000 00088006
	s_mov_b64 exec, s[36:37]                                   // 00000000BBA4: BEFE0124
	v_mov_b32_e32 v6, v71                                      // 00000000BBA8: 7E0C0347
	s_mov_b64 s[60:61], 0                                      // 00000000BBAC: BEBC0180
	v_readlane_b32 s82, v3, 26                                 // 00000000BBB0: D2890052 00013503
	s_and_b32 s82, s82, 0xffffff                               // 00000000BBB8: 8652FF52 00FFFFFF
	s_cmp_lt_u32 s82, s66                                      // 00000000BBC0: BF0A4252
	s_cselect_b32 s20, s36, s60                                // 00000000BBC4: 85143C24
	v_readlane_b32 s82, v3, 27                                 // 00000000BBC8: D2890052 00013703
	s_and_b32 s82, s82, 0xffffff                               // 00000000BBD0: 8652FF52 00FFFFFF
	s_cmp_lt_u32 s82, s66                                      // 00000000BBD8: BF0A4252
	s_cselect_b32 s21, s36, s60                                // 00000000BBDC: 85153C24
	s_mov_b64 exec, s[20:21]                                   // 00000000BBE0: BEFE0114
	global_atomic_add_f32 v6, v129, s[8:9]                     // 00000000BBE4: DD348000 00088106
	s_mov_b64 exec, s[36:37]                                   // 00000000BBEC: BEFE0124
	ds_write_b64 v20, v[106:107]                               // 00000000BBF0: D89A0000 00006A14
	ds_write_b64 v20, v[110:111] offset:2176                   // 00000000BBF8: D89A0880 00006E14
	ds_write_b64 v20, v[114:115] offset:4352                   // 00000000BC00: D89A1100 00007214
	ds_write_b64 v20, v[118:119] offset:6528                   // 00000000BC08: D89A1980 00007614
	ds_write_b64 v20, v[122:123] offset:8704                   // 00000000BC10: D89A2200 00007A14
	ds_write_b64 v20, v[126:127] offset:10880                  // 00000000BC18: D89A2A80 00007E14
	ds_write_b64 v20, v[130:131] offset:13056                  // 00000000BC20: D89A3300 00008214
	s_waitcnt lgkmcnt(0)                                       // 00000000BC28: BF8CC07F
	s_barrier                                                  // 00000000BC2C: BF8A0000
	ds_read_b32 v106, v21                                      // 00000000BC30: D86C0000 6A000015
	ds_read_b32 v107, v21 offset:64                            // 00000000BC38: D86C0040 6B000015
	ds_read_b32 v110, v21 offset:2176                          // 00000000BC40: D86C0880 6E000015
	ds_read_b32 v111, v21 offset:2240                          // 00000000BC48: D86C08C0 6F000015
	ds_read_b32 v114, v21 offset:4352                          // 00000000BC50: D86C1100 72000015
	ds_read_b32 v115, v21 offset:4416                          // 00000000BC58: D86C1140 73000015
	ds_read_b32 v118, v21 offset:6528                          // 00000000BC60: D86C1980 76000015
	ds_read_b32 v119, v21 offset:6592                          // 00000000BC68: D86C19C0 77000015
	ds_read_b32 v122, v21 offset:8704                          // 00000000BC70: D86C2200 7A000015
	ds_read_b32 v123, v21 offset:8768                          // 00000000BC78: D86C2240 7B000015
	ds_read_b32 v126, v21 offset:10880                         // 00000000BC80: D86C2A80 7E000015
	ds_read_b32 v127, v21 offset:10944                         // 00000000BC88: D86C2AC0 7F000015
	ds_read_b32 v130, v21 offset:13056                         // 00000000BC90: D86C3300 82000015
	ds_read_b32 v131, v21 offset:13120                         // 00000000BC98: D86C3340 83000015
	s_waitcnt lgkmcnt(0)                                       // 00000000BCA0: BF8CC07F
	v_mov_b32_e32 v7, 0                                        // 00000000BCA4: 7E0E0280
	s_mov_b64 exec, s[36:37]                                   // 00000000BCA8: BEFE0124
	v_mov_b32_e32 v6, v58                                      // 00000000BCAC: 7E0C033A
	s_mov_b64 s[60:61], 0                                      // 00000000BCB0: BEBC0180
	v_readlane_b32 s82, v3, 0                                  // 00000000BCB4: D2890052 00010103
	s_and_b32 s82, s82, 0xffffff                               // 00000000BCBC: 8652FF52 00FFFFFF
	s_cmp_lt_u32 s82, s66                                      // 00000000BCC4: BF0A4252
	s_cselect_b32 s20, s36, s60                                // 00000000BCC8: 85143C24
	v_readlane_b32 s82, v3, 1                                  // 00000000BCCC: D2890052 00010303
	s_and_b32 s82, s82, 0xffffff                               // 00000000BCD4: 8652FF52 00FFFFFF
	s_cmp_lt_u32 s82, s66                                      // 00000000BCDC: BF0A4252
	s_cselect_b32 s21, s36, s60                                // 00000000BCE0: 85153C24
	s_mov_b64 exec, s[20:21]                                   // 00000000BCE4: BEFE0114
	global_atomic_add_f32 v6, v106, s[8:9] offset:8            // 00000000BCE8: DD348008 00086A06
	s_mov_b64 exec, s[36:37]                                   // 00000000BCF0: BEFE0124
	v_mov_b32_e32 v6, v59                                      // 00000000BCF4: 7E0C033B
	s_mov_b64 s[60:61], 0                                      // 00000000BCF8: BEBC0180
	v_readlane_b32 s82, v3, 2                                  // 00000000BCFC: D2890052 00010503
	s_and_b32 s82, s82, 0xffffff                               // 00000000BD04: 8652FF52 00FFFFFF
	s_cmp_lt_u32 s82, s66                                      // 00000000BD0C: BF0A4252
	s_cselect_b32 s20, s36, s60                                // 00000000BD10: 85143C24
	v_readlane_b32 s82, v3, 3                                  // 00000000BD14: D2890052 00010703
	s_and_b32 s82, s82, 0xffffff                               // 00000000BD1C: 8652FF52 00FFFFFF
	s_cmp_lt_u32 s82, s66                                      // 00000000BD24: BF0A4252
	s_cselect_b32 s21, s36, s60                                // 00000000BD28: 85153C24
	s_mov_b64 exec, s[20:21]                                   // 00000000BD2C: BEFE0114
	global_atomic_add_f32 v6, v107, s[8:9] offset:8            // 00000000BD30: DD348008 00086B06
	s_mov_b64 exec, s[36:37]                                   // 00000000BD38: BEFE0124
	v_mov_b32_e32 v6, v60                                      // 00000000BD3C: 7E0C033C
	s_mov_b64 s[60:61], 0                                      // 00000000BD40: BEBC0180
	v_readlane_b32 s82, v3, 4                                  // 00000000BD44: D2890052 00010903
	s_and_b32 s82, s82, 0xffffff                               // 00000000BD4C: 8652FF52 00FFFFFF
	s_cmp_lt_u32 s82, s66                                      // 00000000BD54: BF0A4252
	s_cselect_b32 s20, s36, s60                                // 00000000BD58: 85143C24
	v_readlane_b32 s82, v3, 5                                  // 00000000BD5C: D2890052 00010B03
	s_and_b32 s82, s82, 0xffffff                               // 00000000BD64: 8652FF52 00FFFFFF
	s_cmp_lt_u32 s82, s66                                      // 00000000BD6C: BF0A4252
	s_cselect_b32 s21, s36, s60                                // 00000000BD70: 85153C24
	s_mov_b64 exec, s[20:21]                                   // 00000000BD74: BEFE0114
	global_atomic_add_f32 v6, v110, s[8:9] offset:8            // 00000000BD78: DD348008 00086E06
	s_mov_b64 exec, s[36:37]                                   // 00000000BD80: BEFE0124
	v_mov_b32_e32 v6, v61                                      // 00000000BD84: 7E0C033D
	s_mov_b64 s[60:61], 0                                      // 00000000BD88: BEBC0180
	v_readlane_b32 s82, v3, 6                                  // 00000000BD8C: D2890052 00010D03
	s_and_b32 s82, s82, 0xffffff                               // 00000000BD94: 8652FF52 00FFFFFF
	s_cmp_lt_u32 s82, s66                                      // 00000000BD9C: BF0A4252
	s_cselect_b32 s20, s36, s60                                // 00000000BDA0: 85143C24
	v_readlane_b32 s82, v3, 7                                  // 00000000BDA4: D2890052 00010F03
	s_and_b32 s82, s82, 0xffffff                               // 00000000BDAC: 8652FF52 00FFFFFF
	s_cmp_lt_u32 s82, s66                                      // 00000000BDB4: BF0A4252
	s_cselect_b32 s21, s36, s60                                // 00000000BDB8: 85153C24
	s_mov_b64 exec, s[20:21]                                   // 00000000BDBC: BEFE0114
	global_atomic_add_f32 v6, v111, s[8:9] offset:8            // 00000000BDC0: DD348008 00086F06
	s_mov_b64 exec, s[36:37]                                   // 00000000BDC8: BEFE0124
	v_mov_b32_e32 v6, v62                                      // 00000000BDCC: 7E0C033E
	s_mov_b64 s[60:61], 0                                      // 00000000BDD0: BEBC0180
	v_readlane_b32 s82, v3, 8                                  // 00000000BDD4: D2890052 00011103
	s_and_b32 s82, s82, 0xffffff                               // 00000000BDDC: 8652FF52 00FFFFFF
	s_cmp_lt_u32 s82, s66                                      // 00000000BDE4: BF0A4252
	s_cselect_b32 s20, s36, s60                                // 00000000BDE8: 85143C24
	v_readlane_b32 s82, v3, 9                                  // 00000000BDEC: D2890052 00011303
	s_and_b32 s82, s82, 0xffffff                               // 00000000BDF4: 8652FF52 00FFFFFF
	s_cmp_lt_u32 s82, s66                                      // 00000000BDFC: BF0A4252
	s_cselect_b32 s21, s36, s60                                // 00000000BE00: 85153C24
	s_mov_b64 exec, s[20:21]                                   // 00000000BE04: BEFE0114
	global_atomic_add_f32 v6, v114, s[8:9] offset:8            // 00000000BE08: DD348008 00087206
	s_mov_b64 exec, s[36:37]                                   // 00000000BE10: BEFE0124
	v_mov_b32_e32 v6, v63                                      // 00000000BE14: 7E0C033F
	s_mov_b64 s[60:61], 0                                      // 00000000BE18: BEBC0180
	v_readlane_b32 s82, v3, 10                                 // 00000000BE1C: D2890052 00011503
	s_and_b32 s82, s82, 0xffffff                               // 00000000BE24: 8652FF52 00FFFFFF
	s_cmp_lt_u32 s82, s66                                      // 00000000BE2C: BF0A4252
	s_cselect_b32 s20, s36, s60                                // 00000000BE30: 85143C24
	v_readlane_b32 s82, v3, 11                                 // 00000000BE34: D2890052 00011703
	s_and_b32 s82, s82, 0xffffff                               // 00000000BE3C: 8652FF52 00FFFFFF
	s_cmp_lt_u32 s82, s66                                      // 00000000BE44: BF0A4252
	s_cselect_b32 s21, s36, s60                                // 00000000BE48: 85153C24
	s_mov_b64 exec, s[20:21]                                   // 00000000BE4C: BEFE0114
	global_atomic_add_f32 v6, v115, s[8:9] offset:8            // 00000000BE50: DD348008 00087306
	s_mov_b64 exec, s[36:37]                                   // 00000000BE58: BEFE0124
	v_mov_b32_e32 v6, v64                                      // 00000000BE5C: 7E0C0340
	s_mov_b64 s[60:61], 0                                      // 00000000BE60: BEBC0180
	v_readlane_b32 s82, v3, 12                                 // 00000000BE64: D2890052 00011903
	s_and_b32 s82, s82, 0xffffff                               // 00000000BE6C: 8652FF52 00FFFFFF
	s_cmp_lt_u32 s82, s66                                      // 00000000BE74: BF0A4252
	s_cselect_b32 s20, s36, s60                                // 00000000BE78: 85143C24
	v_readlane_b32 s82, v3, 13                                 // 00000000BE7C: D2890052 00011B03
	s_and_b32 s82, s82, 0xffffff                               // 00000000BE84: 8652FF52 00FFFFFF
	s_cmp_lt_u32 s82, s66                                      // 00000000BE8C: BF0A4252
	s_cselect_b32 s21, s36, s60                                // 00000000BE90: 85153C24
	s_mov_b64 exec, s[20:21]                                   // 00000000BE94: BEFE0114
	global_atomic_add_f32 v6, v118, s[8:9] offset:8            // 00000000BE98: DD348008 00087606
	s_mov_b64 exec, s[36:37]                                   // 00000000BEA0: BEFE0124
	v_mov_b32_e32 v6, v65                                      // 00000000BEA4: 7E0C0341
	s_mov_b64 s[60:61], 0                                      // 00000000BEA8: BEBC0180
	v_readlane_b32 s82, v3, 14                                 // 00000000BEAC: D2890052 00011D03
	s_and_b32 s82, s82, 0xffffff                               // 00000000BEB4: 8652FF52 00FFFFFF
	s_cmp_lt_u32 s82, s66                                      // 00000000BEBC: BF0A4252
	s_cselect_b32 s20, s36, s60                                // 00000000BEC0: 85143C24
	v_readlane_b32 s82, v3, 15                                 // 00000000BEC4: D2890052 00011F03
	s_and_b32 s82, s82, 0xffffff                               // 00000000BECC: 8652FF52 00FFFFFF
	s_cmp_lt_u32 s82, s66                                      // 00000000BED4: BF0A4252
	s_cselect_b32 s21, s36, s60                                // 00000000BED8: 85153C24
	s_mov_b64 exec, s[20:21]                                   // 00000000BEDC: BEFE0114
	global_atomic_add_f32 v6, v119, s[8:9] offset:8            // 00000000BEE0: DD348008 00087706
	s_mov_b64 exec, s[36:37]                                   // 00000000BEE8: BEFE0124
	v_mov_b32_e32 v6, v66                                      // 00000000BEEC: 7E0C0342
	s_mov_b64 s[60:61], 0                                      // 00000000BEF0: BEBC0180
	v_readlane_b32 s82, v3, 16                                 // 00000000BEF4: D2890052 00012103
	s_and_b32 s82, s82, 0xffffff                               // 00000000BEFC: 8652FF52 00FFFFFF
	s_cmp_lt_u32 s82, s66                                      // 00000000BF04: BF0A4252
	s_cselect_b32 s20, s36, s60                                // 00000000BF08: 85143C24
	v_readlane_b32 s82, v3, 17                                 // 00000000BF0C: D2890052 00012303
	s_and_b32 s82, s82, 0xffffff                               // 00000000BF14: 8652FF52 00FFFFFF
	s_cmp_lt_u32 s82, s66                                      // 00000000BF1C: BF0A4252
	s_cselect_b32 s21, s36, s60                                // 00000000BF20: 85153C24
	s_mov_b64 exec, s[20:21]                                   // 00000000BF24: BEFE0114
	global_atomic_add_f32 v6, v122, s[8:9] offset:8            // 00000000BF28: DD348008 00087A06
	s_mov_b64 exec, s[36:37]                                   // 00000000BF30: BEFE0124
	v_mov_b32_e32 v6, v67                                      // 00000000BF34: 7E0C0343
	s_mov_b64 s[60:61], 0                                      // 00000000BF38: BEBC0180
	v_readlane_b32 s82, v3, 18                                 // 00000000BF3C: D2890052 00012503
	s_and_b32 s82, s82, 0xffffff                               // 00000000BF44: 8652FF52 00FFFFFF
	s_cmp_lt_u32 s82, s66                                      // 00000000BF4C: BF0A4252
	s_cselect_b32 s20, s36, s60                                // 00000000BF50: 85143C24
	v_readlane_b32 s82, v3, 19                                 // 00000000BF54: D2890052 00012703
	s_and_b32 s82, s82, 0xffffff                               // 00000000BF5C: 8652FF52 00FFFFFF
	s_cmp_lt_u32 s82, s66                                      // 00000000BF64: BF0A4252
	s_cselect_b32 s21, s36, s60                                // 00000000BF68: 85153C24
	s_mov_b64 exec, s[20:21]                                   // 00000000BF6C: BEFE0114
	global_atomic_add_f32 v6, v123, s[8:9] offset:8            // 00000000BF70: DD348008 00087B06
	s_mov_b64 exec, s[36:37]                                   // 00000000BF78: BEFE0124
	v_mov_b32_e32 v6, v68                                      // 00000000BF7C: 7E0C0344
	s_mov_b64 s[60:61], 0                                      // 00000000BF80: BEBC0180
	v_readlane_b32 s82, v3, 20                                 // 00000000BF84: D2890052 00012903
	s_and_b32 s82, s82, 0xffffff                               // 00000000BF8C: 8652FF52 00FFFFFF
	s_cmp_lt_u32 s82, s66                                      // 00000000BF94: BF0A4252
	s_cselect_b32 s20, s36, s60                                // 00000000BF98: 85143C24
	v_readlane_b32 s82, v3, 21                                 // 00000000BF9C: D2890052 00012B03
	s_and_b32 s82, s82, 0xffffff                               // 00000000BFA4: 8652FF52 00FFFFFF
	s_cmp_lt_u32 s82, s66                                      // 00000000BFAC: BF0A4252
	s_cselect_b32 s21, s36, s60                                // 00000000BFB0: 85153C24
	s_mov_b64 exec, s[20:21]                                   // 00000000BFB4: BEFE0114
	global_atomic_add_f32 v6, v126, s[8:9] offset:8            // 00000000BFB8: DD348008 00087E06
	s_mov_b64 exec, s[36:37]                                   // 00000000BFC0: BEFE0124
	v_mov_b32_e32 v6, v69                                      // 00000000BFC4: 7E0C0345
	s_mov_b64 s[60:61], 0                                      // 00000000BFC8: BEBC0180
	v_readlane_b32 s82, v3, 22                                 // 00000000BFCC: D2890052 00012D03
	s_and_b32 s82, s82, 0xffffff                               // 00000000BFD4: 8652FF52 00FFFFFF
	s_cmp_lt_u32 s82, s66                                      // 00000000BFDC: BF0A4252
	s_cselect_b32 s20, s36, s60                                // 00000000BFE0: 85143C24
	v_readlane_b32 s82, v3, 23                                 // 00000000BFE4: D2890052 00012F03
	s_and_b32 s82, s82, 0xffffff                               // 00000000BFEC: 8652FF52 00FFFFFF
	s_cmp_lt_u32 s82, s66                                      // 00000000BFF4: BF0A4252
	s_cselect_b32 s21, s36, s60                                // 00000000BFF8: 85153C24
	s_mov_b64 exec, s[20:21]                                   // 00000000BFFC: BEFE0114
	global_atomic_add_f32 v6, v127, s[8:9] offset:8            // 00000000C000: DD348008 00087F06
	s_mov_b64 exec, s[36:37]                                   // 00000000C008: BEFE0124
	v_mov_b32_e32 v6, v70                                      // 00000000C00C: 7E0C0346
	s_mov_b64 s[60:61], 0                                      // 00000000C010: BEBC0180
	v_readlane_b32 s82, v3, 24                                 // 00000000C014: D2890052 00013103
	s_and_b32 s82, s82, 0xffffff                               // 00000000C01C: 8652FF52 00FFFFFF
	s_cmp_lt_u32 s82, s66                                      // 00000000C024: BF0A4252
	s_cselect_b32 s20, s36, s60                                // 00000000C028: 85143C24
	v_readlane_b32 s82, v3, 25                                 // 00000000C02C: D2890052 00013303
	s_and_b32 s82, s82, 0xffffff                               // 00000000C034: 8652FF52 00FFFFFF
	s_cmp_lt_u32 s82, s66                                      // 00000000C03C: BF0A4252
	s_cselect_b32 s21, s36, s60                                // 00000000C040: 85153C24
	s_mov_b64 exec, s[20:21]                                   // 00000000C044: BEFE0114
	global_atomic_add_f32 v6, v130, s[8:9] offset:8            // 00000000C048: DD348008 00088206
	s_mov_b64 exec, s[36:37]                                   // 00000000C050: BEFE0124
	v_mov_b32_e32 v6, v71                                      // 00000000C054: 7E0C0347
	s_mov_b64 s[60:61], 0                                      // 00000000C058: BEBC0180
	v_readlane_b32 s82, v3, 26                                 // 00000000C05C: D2890052 00013503
	s_and_b32 s82, s82, 0xffffff                               // 00000000C064: 8652FF52 00FFFFFF
	s_cmp_lt_u32 s82, s66                                      // 00000000C06C: BF0A4252
	s_cselect_b32 s20, s36, s60                                // 00000000C070: 85143C24
	v_readlane_b32 s82, v3, 27                                 // 00000000C074: D2890052 00013703
	s_and_b32 s82, s82, 0xffffff                               // 00000000C07C: 8652FF52 00FFFFFF
	s_cmp_lt_u32 s82, s66                                      // 00000000C084: BF0A4252
	s_cselect_b32 s21, s36, s60                                // 00000000C088: 85153C24
	s_mov_b64 exec, s[20:21]                                   // 00000000C08C: BEFE0114
	global_atomic_add_f32 v6, v131, s[8:9] offset:8            // 00000000C090: DD348008 00088306
	s_mov_b64 exec, s[36:37]                                   // 00000000C098: BEFE0124
	s_branch label_25AB                                        // 00000000C09C: BF820000

000000000000c0a0 <label_25AB>:
	s_waitcnt vmcnt(0) expcnt(0) lgkmcnt(0)                    // 00000000C0A0: BF8C0000
	s_endpgm                                                   // 00000000C0A4: BF810000
